;; amdgpu-corpus repo=ROCm/rocFFT kind=compiled arch=gfx1030 opt=O3
	.text
	.amdgcn_target "amdgcn-amd-amdhsa--gfx1030"
	.amdhsa_code_object_version 6
	.protected	fft_rtc_back_len1372_factors_2_2_7_7_7_wgs_196_tpt_98_halfLds_half_op_CI_CI_unitstride_sbrr_R2C_dirReg ; -- Begin function fft_rtc_back_len1372_factors_2_2_7_7_7_wgs_196_tpt_98_halfLds_half_op_CI_CI_unitstride_sbrr_R2C_dirReg
	.globl	fft_rtc_back_len1372_factors_2_2_7_7_7_wgs_196_tpt_98_halfLds_half_op_CI_CI_unitstride_sbrr_R2C_dirReg
	.p2align	8
	.type	fft_rtc_back_len1372_factors_2_2_7_7_7_wgs_196_tpt_98_halfLds_half_op_CI_CI_unitstride_sbrr_R2C_dirReg,@function
fft_rtc_back_len1372_factors_2_2_7_7_7_wgs_196_tpt_98_halfLds_half_op_CI_CI_unitstride_sbrr_R2C_dirReg: ; @fft_rtc_back_len1372_factors_2_2_7_7_7_wgs_196_tpt_98_halfLds_half_op_CI_CI_unitstride_sbrr_R2C_dirReg
; %bb.0:
	s_clause 0x2
	s_load_dwordx4 s[12:15], s[4:5], 0x0
	s_load_dwordx4 s[8:11], s[4:5], 0x58
	;; [unrolled: 1-line block ×3, first 2 shown]
	v_mul_u32_u24_e32 v1, 0x29d, v0
	v_mov_b32_e32 v3, 0
	v_mov_b32_e32 v18, 0
	;; [unrolled: 1-line block ×3, first 2 shown]
	v_lshrrev_b32_e32 v9, 16, v1
	v_mov_b32_e32 v8, v3
	v_lshl_add_u32 v7, s6, 1, v9
	s_waitcnt lgkmcnt(0)
	v_cmp_lt_u64_e64 s0, s[14:15], 2
	s_and_b32 vcc_lo, exec_lo, s0
	s_cbranch_vccnz .LBB0_8
; %bb.1:
	s_load_dwordx2 s[0:1], s[4:5], 0x10
	v_mov_b32_e32 v18, 0
	v_mov_b32_e32 v19, 0
	s_add_u32 s2, s18, 8
	s_addc_u32 s3, s19, 0
	v_mov_b32_e32 v1, v18
	s_add_u32 s6, s16, 8
	v_mov_b32_e32 v2, v19
	s_addc_u32 s7, s17, 0
	s_mov_b64 s[22:23], 1
	s_waitcnt lgkmcnt(0)
	s_add_u32 s20, s0, 8
	s_addc_u32 s21, s1, 0
.LBB0_2:                                ; =>This Inner Loop Header: Depth=1
	s_load_dwordx2 s[24:25], s[20:21], 0x0
                                        ; implicit-def: $vgpr5_vgpr6
	s_mov_b32 s0, exec_lo
	s_waitcnt lgkmcnt(0)
	v_or_b32_e32 v4, s25, v8
	v_cmpx_ne_u64_e32 0, v[3:4]
	s_xor_b32 s1, exec_lo, s0
	s_cbranch_execz .LBB0_4
; %bb.3:                                ;   in Loop: Header=BB0_2 Depth=1
	v_cvt_f32_u32_e32 v4, s24
	v_cvt_f32_u32_e32 v5, s25
	s_sub_u32 s0, 0, s24
	s_subb_u32 s26, 0, s25
	v_fmac_f32_e32 v4, 0x4f800000, v5
	v_rcp_f32_e32 v4, v4
	v_mul_f32_e32 v4, 0x5f7ffffc, v4
	v_mul_f32_e32 v5, 0x2f800000, v4
	v_trunc_f32_e32 v5, v5
	v_fmac_f32_e32 v4, 0xcf800000, v5
	v_cvt_u32_f32_e32 v5, v5
	v_cvt_u32_f32_e32 v4, v4
	v_mul_lo_u32 v6, s0, v5
	v_mul_hi_u32 v10, s0, v4
	v_mul_lo_u32 v11, s26, v4
	v_add_nc_u32_e32 v6, v10, v6
	v_mul_lo_u32 v10, s0, v4
	v_add_nc_u32_e32 v6, v6, v11
	v_mul_hi_u32 v11, v4, v10
	v_mul_lo_u32 v12, v4, v6
	v_mul_hi_u32 v13, v4, v6
	v_mul_hi_u32 v14, v5, v10
	v_mul_lo_u32 v10, v5, v10
	v_mul_hi_u32 v15, v5, v6
	v_mul_lo_u32 v6, v5, v6
	v_add_co_u32 v11, vcc_lo, v11, v12
	v_add_co_ci_u32_e32 v12, vcc_lo, 0, v13, vcc_lo
	v_add_co_u32 v10, vcc_lo, v11, v10
	v_add_co_ci_u32_e32 v10, vcc_lo, v12, v14, vcc_lo
	v_add_co_ci_u32_e32 v11, vcc_lo, 0, v15, vcc_lo
	v_add_co_u32 v6, vcc_lo, v10, v6
	v_add_co_ci_u32_e32 v10, vcc_lo, 0, v11, vcc_lo
	v_add_co_u32 v4, vcc_lo, v4, v6
	v_add_co_ci_u32_e32 v5, vcc_lo, v5, v10, vcc_lo
	v_mul_hi_u32 v6, s0, v4
	v_mul_lo_u32 v11, s26, v4
	v_mul_lo_u32 v10, s0, v5
	v_add_nc_u32_e32 v6, v6, v10
	v_mul_lo_u32 v10, s0, v4
	v_add_nc_u32_e32 v6, v6, v11
	v_mul_hi_u32 v11, v4, v10
	v_mul_lo_u32 v12, v4, v6
	v_mul_hi_u32 v13, v4, v6
	v_mul_hi_u32 v14, v5, v10
	v_mul_lo_u32 v10, v5, v10
	v_mul_hi_u32 v15, v5, v6
	v_mul_lo_u32 v6, v5, v6
	v_add_co_u32 v11, vcc_lo, v11, v12
	v_add_co_ci_u32_e32 v12, vcc_lo, 0, v13, vcc_lo
	v_add_co_u32 v10, vcc_lo, v11, v10
	v_add_co_ci_u32_e32 v10, vcc_lo, v12, v14, vcc_lo
	v_add_co_ci_u32_e32 v11, vcc_lo, 0, v15, vcc_lo
	v_add_co_u32 v6, vcc_lo, v10, v6
	v_add_co_ci_u32_e32 v10, vcc_lo, 0, v11, vcc_lo
	v_add_co_u32 v6, vcc_lo, v4, v6
	v_add_co_ci_u32_e32 v12, vcc_lo, v5, v10, vcc_lo
	v_mul_hi_u32 v14, v7, v6
	v_mad_u64_u32 v[10:11], null, v8, v6, 0
	v_mad_u64_u32 v[4:5], null, v7, v12, 0
	v_mad_u64_u32 v[12:13], null, v8, v12, 0
	v_add_co_u32 v4, vcc_lo, v14, v4
	v_add_co_ci_u32_e32 v5, vcc_lo, 0, v5, vcc_lo
	v_add_co_u32 v4, vcc_lo, v4, v10
	v_add_co_ci_u32_e32 v4, vcc_lo, v5, v11, vcc_lo
	v_add_co_ci_u32_e32 v5, vcc_lo, 0, v13, vcc_lo
	v_add_co_u32 v10, vcc_lo, v4, v12
	v_add_co_ci_u32_e32 v6, vcc_lo, 0, v5, vcc_lo
	v_mul_lo_u32 v11, s25, v10
	v_mad_u64_u32 v[4:5], null, s24, v10, 0
	v_mul_lo_u32 v12, s24, v6
	v_sub_co_u32 v4, vcc_lo, v7, v4
	v_add3_u32 v5, v5, v12, v11
	v_sub_nc_u32_e32 v11, v8, v5
	v_subrev_co_ci_u32_e64 v11, s0, s25, v11, vcc_lo
	v_add_co_u32 v12, s0, v10, 2
	v_add_co_ci_u32_e64 v13, s0, 0, v6, s0
	v_sub_co_u32 v14, s0, v4, s24
	v_sub_co_ci_u32_e32 v5, vcc_lo, v8, v5, vcc_lo
	v_subrev_co_ci_u32_e64 v11, s0, 0, v11, s0
	v_cmp_le_u32_e32 vcc_lo, s24, v14
	v_cmp_eq_u32_e64 s0, s25, v5
	v_cndmask_b32_e64 v14, 0, -1, vcc_lo
	v_cmp_le_u32_e32 vcc_lo, s25, v11
	v_cndmask_b32_e64 v15, 0, -1, vcc_lo
	v_cmp_le_u32_e32 vcc_lo, s24, v4
	;; [unrolled: 2-line block ×3, first 2 shown]
	v_cndmask_b32_e64 v16, 0, -1, vcc_lo
	v_cmp_eq_u32_e32 vcc_lo, s25, v11
	v_cndmask_b32_e64 v4, v16, v4, s0
	v_cndmask_b32_e32 v11, v15, v14, vcc_lo
	v_add_co_u32 v14, vcc_lo, v10, 1
	v_add_co_ci_u32_e32 v15, vcc_lo, 0, v6, vcc_lo
	v_cmp_ne_u32_e32 vcc_lo, 0, v11
	v_cndmask_b32_e32 v5, v15, v13, vcc_lo
	v_cndmask_b32_e32 v11, v14, v12, vcc_lo
	v_cmp_ne_u32_e32 vcc_lo, 0, v4
	v_cndmask_b32_e32 v6, v6, v5, vcc_lo
	v_cndmask_b32_e32 v5, v10, v11, vcc_lo
.LBB0_4:                                ;   in Loop: Header=BB0_2 Depth=1
	s_andn2_saveexec_b32 s0, s1
	s_cbranch_execz .LBB0_6
; %bb.5:                                ;   in Loop: Header=BB0_2 Depth=1
	v_cvt_f32_u32_e32 v4, s24
	s_sub_i32 s1, 0, s24
	v_rcp_iflag_f32_e32 v4, v4
	v_mul_f32_e32 v4, 0x4f7ffffe, v4
	v_cvt_u32_f32_e32 v4, v4
	v_mul_lo_u32 v5, s1, v4
	v_mul_hi_u32 v5, v4, v5
	v_add_nc_u32_e32 v4, v4, v5
	v_mul_hi_u32 v4, v7, v4
	v_mul_lo_u32 v5, v4, s24
	v_add_nc_u32_e32 v6, 1, v4
	v_sub_nc_u32_e32 v5, v7, v5
	v_subrev_nc_u32_e32 v10, s24, v5
	v_cmp_le_u32_e32 vcc_lo, s24, v5
	v_cndmask_b32_e32 v5, v5, v10, vcc_lo
	v_cndmask_b32_e32 v4, v4, v6, vcc_lo
	v_cmp_le_u32_e32 vcc_lo, s24, v5
	v_add_nc_u32_e32 v6, 1, v4
	v_cndmask_b32_e32 v5, v4, v6, vcc_lo
	v_mov_b32_e32 v6, v3
.LBB0_6:                                ;   in Loop: Header=BB0_2 Depth=1
	s_or_b32 exec_lo, exec_lo, s0
	v_mul_lo_u32 v4, v6, s24
	v_mul_lo_u32 v12, v5, s25
	s_load_dwordx2 s[0:1], s[6:7], 0x0
	v_mad_u64_u32 v[10:11], null, v5, s24, 0
	s_load_dwordx2 s[24:25], s[2:3], 0x0
	s_add_u32 s22, s22, 1
	s_addc_u32 s23, s23, 0
	s_add_u32 s2, s2, 8
	s_addc_u32 s3, s3, 0
	s_add_u32 s6, s6, 8
	v_add3_u32 v4, v11, v12, v4
	v_sub_co_u32 v7, vcc_lo, v7, v10
	s_addc_u32 s7, s7, 0
	s_add_u32 s20, s20, 8
	v_sub_co_ci_u32_e32 v4, vcc_lo, v8, v4, vcc_lo
	s_addc_u32 s21, s21, 0
	s_waitcnt lgkmcnt(0)
	v_mul_lo_u32 v8, s0, v4
	v_mul_lo_u32 v10, s1, v7
	v_mad_u64_u32 v[18:19], null, s0, v7, v[18:19]
	v_mul_lo_u32 v4, s24, v4
	v_mul_lo_u32 v11, s25, v7
	v_mad_u64_u32 v[1:2], null, s24, v7, v[1:2]
	v_cmp_ge_u64_e64 s0, s[22:23], s[14:15]
	v_add3_u32 v19, v10, v19, v8
	v_add3_u32 v2, v11, v2, v4
	s_and_b32 vcc_lo, exec_lo, s0
	s_cbranch_vccnz .LBB0_9
; %bb.7:                                ;   in Loop: Header=BB0_2 Depth=1
	v_mov_b32_e32 v8, v6
	v_mov_b32_e32 v7, v5
	s_branch .LBB0_2
.LBB0_8:
	v_mov_b32_e32 v1, v18
	v_mov_b32_e32 v5, v7
	;; [unrolled: 1-line block ×4, first 2 shown]
.LBB0_9:
	s_load_dwordx2 s[0:1], s[4:5], 0x28
	v_and_b32_e32 v3, 1, v9
	v_mul_hi_u32 v4, 0x29cbc15, v0
	s_lshl_b64 s[4:5], s[14:15], 3
                                        ; implicit-def: $vgpr7
                                        ; implicit-def: $vgpr17
                                        ; implicit-def: $vgpr15
                                        ; implicit-def: $vgpr13
                                        ; implicit-def: $vgpr11
                                        ; implicit-def: $vgpr9
	s_add_u32 s2, s18, s4
	s_addc_u32 s3, s19, s5
	s_waitcnt lgkmcnt(0)
	v_cmp_gt_u64_e32 vcc_lo, s[0:1], v[5:6]
	v_cmp_le_u64_e64 s1, s[0:1], v[5:6]
	v_cmp_eq_u32_e64 s0, 1, v3
                                        ; implicit-def: $vgpr3
	s_and_saveexec_b32 s6, s1
	s_xor_b32 s1, exec_lo, s6
; %bb.10:
	v_mul_u32_u24_e32 v3, 0x62, v4
                                        ; implicit-def: $vgpr4
                                        ; implicit-def: $vgpr18_vgpr19
	v_sub_nc_u32_e32 v3, v0, v3
                                        ; implicit-def: $vgpr0
	v_add_nc_u32_e32 v7, 0x62, v3
	v_add_nc_u32_e32 v17, 0xc4, v3
	;; [unrolled: 1-line block ×6, first 2 shown]
; %bb.11:
	s_or_saveexec_b32 s1, s1
	v_cndmask_b32_e64 v8, 0, 0x55d, s0
	v_lshlrev_b32_e32 v27, 2, v8
	s_xor_b32 exec_lo, exec_lo, s1
	s_cbranch_execz .LBB0_13
; %bb.12:
	s_add_u32 s4, s16, s4
	s_addc_u32 s5, s17, s5
	s_load_dwordx2 s[4:5], s[4:5], 0x0
	s_waitcnt lgkmcnt(0)
	v_mul_lo_u32 v3, s5, v5
	v_mul_lo_u32 v9, s4, v6
	v_mad_u64_u32 v[7:8], null, s4, v5, 0
	v_add3_u32 v8, v8, v9, v3
	v_mul_u32_u24_e32 v3, 0x62, v4
	v_lshlrev_b64 v[9:10], 2, v[18:19]
	v_lshlrev_b64 v[7:8], 2, v[7:8]
	v_sub_nc_u32_e32 v3, v0, v3
	v_lshlrev_b32_e32 v13, 2, v3
	v_add_co_u32 v0, s0, s8, v7
	v_add_co_ci_u32_e64 v4, s0, s9, v8, s0
	v_add3_u32 v25, 0, v27, v13
	v_add_co_u32 v0, s0, v0, v9
	v_add_co_ci_u32_e64 v4, s0, v4, v10, s0
	v_add_nc_u32_e32 v17, 0xc4, v3
	v_add_co_u32 v7, s0, v0, v13
	v_add_co_ci_u32_e64 v8, s0, 0, v4, s0
	v_add_nc_u32_e32 v15, 0x126, v3
	v_add_co_u32 v9, s0, 0x800, v7
	v_add_co_ci_u32_e64 v10, s0, 0, v8, s0
	v_add_co_u32 v11, s0, 0x1000, v7
	v_add_co_ci_u32_e64 v12, s0, 0, v8, s0
	s_clause 0xd
	global_load_dword v0, v[7:8], off
	global_load_dword v4, v[7:8], off offset:392
	global_load_dword v14, v[7:8], off offset:784
	global_load_dword v16, v[7:8], off offset:1176
	global_load_dword v18, v[7:8], off offset:1568
	global_load_dword v8, v[7:8], off offset:1960
	global_load_dword v19, v[9:10], off offset:304
	global_load_dword v20, v[9:10], off offset:696
	global_load_dword v21, v[9:10], off offset:1088
	global_load_dword v22, v[9:10], off offset:1480
	global_load_dword v10, v[9:10], off offset:1872
	global_load_dword v23, v[11:12], off offset:216
	global_load_dword v24, v[11:12], off offset:608
	global_load_dword v12, v[11:12], off offset:1000
	v_add_nc_u32_e32 v7, 0x62, v3
	v_add_nc_u32_e32 v13, 0x188, v3
	;; [unrolled: 1-line block ×10, first 2 shown]
	s_waitcnt vmcnt(12)
	ds_write2_b32 v25, v0, v4 offset1:98
	s_waitcnt vmcnt(10)
	ds_write2_b32 v26, v14, v16 offset0:68 offset1:166
	s_waitcnt vmcnt(8)
	ds_write2_b32 v28, v18, v8 offset0:136 offset1:234
	s_waitcnt vmcnt(6)
	ds_write2_b32 v29, v19, v20 offset0:76 offset1:174
	s_waitcnt vmcnt(4)
	ds_write2_b32 v30, v21, v22 offset0:16 offset1:114
	s_waitcnt vmcnt(2)
	ds_write2_b32 v31, v10, v23 offset0:84 offset1:182
	s_waitcnt vmcnt(0)
	ds_write2_b32 v32, v24, v12 offset0:152 offset1:250
.LBB0_13:
	s_or_b32 exec_lo, exec_lo, s1
	v_lshlrev_b32_e32 v4, 2, v3
	v_add_nc_u32_e32 v0, 0, v27
	s_load_dwordx2 s[2:3], s[2:3], 0x0
	s_waitcnt lgkmcnt(0)
	s_barrier
	v_add3_u32 v8, 0, v4, v27
	v_add_nc_u32_e32 v20, v0, v4
	buffer_gl0_inv
	v_lshl_add_u32 v35, v17, 3, v0
	v_lshl_add_u32 v36, v15, 3, v0
	v_add_nc_u32_e32 v10, 0x600, v8
	v_add_nc_u32_e32 v16, 0x1000, v8
	;; [unrolled: 1-line block ×5, first 2 shown]
	ds_read_b32 v26, v8 offset:5096
	ds_read_b32 v34, v20
	ds_read2_b32 v[18:19], v10 offset0:106 offset1:204
	ds_read2_b32 v[22:23], v16 offset0:54 offset1:152
	;; [unrolled: 1-line block ×6, first 2 shown]
	v_add_nc_u32_e32 v40, v8, v4
	v_lshl_add_u32 v14, v7, 3, v0
	s_waitcnt lgkmcnt(0)
	s_barrier
	buffer_gl0_inv
	v_lshl_add_u32 v37, v13, 3, v0
	v_lshl_add_u32 v38, v11, 3, v0
	;; [unrolled: 1-line block ×3, first 2 shown]
	v_lshlrev_b32_e32 v46, 2, v11
	v_lshlrev_b32_e32 v47, 2, v9
	;; [unrolled: 1-line block ×6, first 2 shown]
	v_pk_add_f16 v26, v19, v26 neg_lo:[0,1] neg_hi:[0,1]
	v_pk_add_f16 v23, v18, v23 neg_lo:[0,1] neg_hi:[0,1]
	v_pk_add_f16 v22, v25, v22 neg_lo:[0,1] neg_hi:[0,1]
	v_pk_add_f16 v29, v24, v29 neg_lo:[0,1] neg_hi:[0,1]
	v_pk_add_f16 v30, v34, v30 neg_lo:[0,1] neg_hi:[0,1]
	v_pk_add_f16 v31, v32, v31 neg_lo:[0,1] neg_hi:[0,1]
	v_pk_add_f16 v28, v33, v28 neg_lo:[0,1] neg_hi:[0,1]
	v_pk_fma_f16 v25, v25, 2.0, v22 op_sel_hi:[1,0,1] neg_lo:[0,0,1] neg_hi:[0,0,1]
	v_pk_fma_f16 v24, v24, 2.0, v29 op_sel_hi:[1,0,1] neg_lo:[0,0,1] neg_hi:[0,0,1]
	;; [unrolled: 1-line block ×5, first 2 shown]
	ds_write2_b32 v40, v34, v30 offset1:1
	ds_write2_b32 v14, v32, v31 offset1:1
	v_and_b32_e32 v32, 1, v3
	v_pk_fma_f16 v18, v18, 2.0, v23 op_sel_hi:[1,0,1] neg_lo:[0,0,1] neg_hi:[0,0,1]
	v_pk_fma_f16 v19, v19, 2.0, v26 op_sel_hi:[1,0,1] neg_lo:[0,0,1] neg_hi:[0,0,1]
	ds_write2_b32 v35, v33, v28 offset1:1
	ds_write2_b32 v36, v24, v29 offset1:1
	;; [unrolled: 1-line block ×4, first 2 shown]
	v_lshlrev_b32_e32 v23, 2, v17
	v_lshlrev_b32_e32 v18, 2, v32
	;; [unrolled: 1-line block ×3, first 2 shown]
	ds_write2_b32 v39, v19, v26 offset1:1
	s_waitcnt lgkmcnt(0)
	s_barrier
	buffer_gl0_inv
	global_load_dword v33, v18, s[12:13]
	v_lshlrev_b32_e32 v22, 2, v7
	v_lshlrev_b32_e32 v26, 2, v13
	v_sub_nc_u32_e32 v25, v35, v23
	v_sub_nc_u32_e32 v23, v36, v24
	ds_read2_b32 v[18:19], v16 offset0:54 offset1:152
	v_sub_nc_u32_e32 v14, v14, v22
	v_sub_nc_u32_e32 v22, v37, v26
	ds_read2_b32 v[28:29], v12 offset0:114 offset1:212
	ds_read2_b32 v[30:31], v21 offset0:46 offset1:144
	v_sub_nc_u32_e32 v26, v38, v46
	v_sub_nc_u32_e32 v24, v39, v47
	ds_read_b32 v35, v20
	ds_read_b32 v36, v25
	;; [unrolled: 1-line block ×7, first 2 shown]
	ds_read_b32 v48, v8 offset:5096
	v_lshlrev_b32_e32 v34, 1, v3
	v_lshlrev_b32_e32 v40, 1, v7
	;; [unrolled: 1-line block ×3, first 2 shown]
	v_and_or_b32 v41, 0x3fc, v41, v32
	v_and_or_b32 v42, 0x3fc, v42, v32
	;; [unrolled: 1-line block ×7, first 2 shown]
	v_lshl_add_u32 v34, v34, 2, v0
	v_lshl_add_u32 v40, v40, 2, v0
	;; [unrolled: 1-line block ×7, first 2 shown]
	s_waitcnt vmcnt(0) lgkmcnt(0)
	s_barrier
	buffer_gl0_inv
	s_add_u32 s1, s12, 0x1568
	s_addc_u32 s4, s13, 0
	s_mov_b32 s5, exec_lo
	v_pk_mul_f16 v49, v33, v19 op_sel:[0,1]
	v_pk_mul_f16 v50, v33, v18 op_sel:[0,1]
	;; [unrolled: 1-line block ×7, first 2 shown]
	v_pk_fma_f16 v55, v33, v19, v49 op_sel:[0,0,1] op_sel_hi:[1,1,0]
	v_pk_fma_f16 v19, v33, v19, v49 op_sel:[0,0,1] op_sel_hi:[1,0,0] neg_lo:[1,0,0] neg_hi:[1,0,0]
	v_pk_fma_f16 v49, v33, v18, v50 op_sel:[0,0,1] op_sel_hi:[1,1,0]
	v_pk_fma_f16 v18, v33, v18, v50 op_sel:[0,0,1] op_sel_hi:[1,0,0] neg_lo:[1,0,0] neg_hi:[1,0,0]
	;; [unrolled: 2-line block ×7, first 2 shown]
	v_and_b32_e32 v54, 3, v3
	v_bfi_b32 v31, 0xffff, v52, v31
	v_bfi_b32 v30, 0xffff, v53, v30
	;; [unrolled: 1-line block ×6, first 2 shown]
	v_mul_u32_u24_e32 v48, 6, v54
	v_bfi_b32 v19, 0xffff, v55, v19
	v_pk_add_f16 v30, v35, v30 neg_lo:[0,1] neg_hi:[0,1]
	v_pk_add_f16 v33, v46, v33 neg_lo:[0,1] neg_hi:[0,1]
	;; [unrolled: 1-line block ×6, first 2 shown]
	v_lshlrev_b32_e32 v48, 2, v48
	v_pk_add_f16 v19, v39, v19 neg_lo:[0,1] neg_hi:[0,1]
	v_pk_fma_f16 v35, v35, 2.0, v30 op_sel_hi:[1,0,1] neg_lo:[0,0,1] neg_hi:[0,0,1]
	v_pk_fma_f16 v45, v46, 2.0, v33 op_sel_hi:[1,0,1] neg_lo:[0,0,1] neg_hi:[0,0,1]
	;; [unrolled: 1-line block ×7, first 2 shown]
	ds_write2_b32 v34, v35, v30 offset1:2
	ds_write2_b32 v40, v46, v31 offset1:2
	;; [unrolled: 1-line block ×7, first 2 shown]
	s_waitcnt lgkmcnt(0)
	s_barrier
	buffer_gl0_inv
	global_load_dwordx4 v[28:31], v48, s[12:13] offset:8
	v_and_b32_e32 v42, 3, v7
	v_mul_u32_u24_e32 v18, 6, v42
	v_lshlrev_b32_e32 v36, 2, v18
	s_clause 0x2
	global_load_dwordx4 v[32:35], v36, s[12:13] offset:8
	global_load_dwordx2 v[18:19], v48, s[12:13] offset:24
	global_load_dwordx2 v[36:37], v36, s[12:13] offset:24
	ds_read_b32 v43, v25
	ds_read_b32 v44, v22
	;; [unrolled: 1-line block ×3, first 2 shown]
	ds_read2_b32 v[38:39], v21 offset0:46 offset1:144
	ds_read_b32 v46, v26
	ds_read_b32 v47, v23
	;; [unrolled: 1-line block ×3, first 2 shown]
	ds_read2_b32 v[40:41], v12 offset0:114 offset1:212
	s_waitcnt lgkmcnt(7)
	v_lshrrev_b32_e32 v49, 16, v43
	s_waitcnt lgkmcnt(6)
	v_lshrrev_b32_e32 v50, 16, v44
	;; [unrolled: 2-line block ×4, first 2 shown]
	s_waitcnt vmcnt(3)
	v_mul_f16_sdwa v51, v28, v49 dst_sel:DWORD dst_unused:UNUSED_PAD src0_sel:WORD_1 src1_sel:DWORD
	v_mul_f16_sdwa v53, v28, v43 dst_sel:DWORD dst_unused:UNUSED_PAD src0_sel:WORD_1 src1_sel:DWORD
	;; [unrolled: 1-line block ×3, first 2 shown]
	v_fmac_f16_e32 v51, v28, v43
	v_mul_f16_sdwa v43, v29, v44 dst_sel:DWORD dst_unused:UNUSED_PAD src0_sel:WORD_1 src1_sel:DWORD
	v_fma_f16 v49, v28, v49, -v53
	v_mul_f16_sdwa v53, v30, v52 dst_sel:DWORD dst_unused:UNUSED_PAD src0_sel:WORD_1 src1_sel:DWORD
	v_mul_f16_sdwa v28, v30, v45 dst_sel:DWORD dst_unused:UNUSED_PAD src0_sel:WORD_1 src1_sel:DWORD
	v_fmac_f16_e32 v56, v29, v44
	v_fma_f16 v43, v29, v50, -v43
	v_mul_f16_sdwa v29, v31, v39 dst_sel:DWORD dst_unused:UNUSED_PAD src0_sel:WORD_1 src1_sel:DWORD
	v_fmac_f16_e32 v53, v30, v45
	v_mul_f16_sdwa v44, v31, v55 dst_sel:DWORD dst_unused:UNUSED_PAD src0_sel:WORD_1 src1_sel:DWORD
	v_fma_f16 v30, v30, v52, -v28
	s_waitcnt lgkmcnt(2)
	v_lshrrev_b32_e32 v28, 16, v47
	v_lshrrev_b32_e32 v50, 16, v46
	v_fma_f16 v45, v31, v55, -v29
	v_fmac_f16_e32 v44, v31, v39
	v_lshrrev_b32_e32 v39, 16, v38
	s_waitcnt vmcnt(2)
	v_mul_f16_sdwa v31, v28, v32 dst_sel:DWORD dst_unused:UNUSED_PAD src0_sel:DWORD src1_sel:WORD_1
	v_mul_f16_sdwa v52, v50, v33 dst_sel:DWORD dst_unused:UNUSED_PAD src0_sel:DWORD src1_sel:WORD_1
	;; [unrolled: 1-line block ×4, first 2 shown]
	v_fmac_f16_e32 v31, v47, v32
	v_mul_f16_sdwa v47, v39, v34 dst_sel:DWORD dst_unused:UNUSED_PAD src0_sel:DWORD src1_sel:WORD_1
	v_fmac_f16_e32 v52, v46, v33
	v_mul_f16_sdwa v46, v38, v34 dst_sel:DWORD dst_unused:UNUSED_PAD src0_sel:DWORD src1_sel:WORD_1
	v_fma_f16 v32, v28, v32, -v29
	ds_read2_b32 v[28:29], v16 offset0:54 offset1:152
	v_fmac_f16_e32 v47, v38, v34
	s_waitcnt lgkmcnt(1)
	v_lshrrev_b32_e32 v38, 16, v40
	v_fma_f16 v34, v39, v34, -v46
	v_mul_f16_sdwa v39, v40, v35 dst_sel:DWORD dst_unused:UNUSED_PAD src0_sel:DWORD src1_sel:WORD_1
	v_fma_f16 v33, v50, v33, -v55
	s_waitcnt vmcnt(1)
	v_mul_f16_sdwa v50, v18, v41 dst_sel:DWORD dst_unused:UNUSED_PAD src0_sel:WORD_1 src1_sel:DWORD
	v_lshrrev_b32_e32 v55, 2, v3
	v_fma_f16 v39, v38, v35, -v39
	v_mul_f16_sdwa v38, v38, v35 dst_sel:DWORD dst_unused:UNUSED_PAD src0_sel:DWORD src1_sel:WORD_1
	v_fmac_f16_e32 v38, v40, v35
	v_lshrrev_b32_e32 v35, 16, v41
	s_waitcnt lgkmcnt(0)
	v_lshrrev_b32_e32 v46, 16, v29
	v_mul_f16_sdwa v40, v18, v35 dst_sel:DWORD dst_unused:UNUSED_PAD src0_sel:WORD_1 src1_sel:DWORD
	v_fmac_f16_e32 v40, v18, v41
	v_mul_f16_sdwa v41, v29, v19 dst_sel:DWORD dst_unused:UNUSED_PAD src0_sel:DWORD src1_sel:WORD_1
	v_fma_f16 v18, v18, v35, -v50
	ds_read_b32 v35, v8 offset:5096
	v_mul_u32_u24_e32 v50, 28, v55
	v_fma_f16 v41, v46, v19, -v41
	v_mul_f16_sdwa v46, v46, v19 dst_sel:DWORD dst_unused:UNUSED_PAD src0_sel:DWORD src1_sel:WORD_1
	v_or_b32_e32 v50, v50, v54
	v_fmac_f16_e32 v46, v29, v19
	v_lshrrev_b32_e32 v19, 16, v28
	v_lshrrev_b32_e32 v29, 2, v7
	v_lshl_add_u32 v50, v50, 2, v0
	s_waitcnt vmcnt(0)
	v_mul_f16_sdwa v54, v19, v36 dst_sel:DWORD dst_unused:UNUSED_PAD src0_sel:DWORD src1_sel:WORD_1
	v_mul_lo_u32 v29, v29, 28
	v_fmac_f16_e32 v54, v28, v36
	v_mul_f16_sdwa v28, v28, v36 dst_sel:DWORD dst_unused:UNUSED_PAD src0_sel:DWORD src1_sel:WORD_1
	s_waitcnt lgkmcnt(0)
	v_lshrrev_b32_e32 v55, 16, v35
	v_or_b32_e32 v29, v29, v42
	v_fma_f16 v19, v19, v36, -v28
	v_mul_f16_sdwa v42, v55, v37 dst_sel:DWORD dst_unused:UNUSED_PAD src0_sel:DWORD src1_sel:WORD_1
	v_mul_f16_sdwa v28, v35, v37 dst_sel:DWORD dst_unused:UNUSED_PAD src0_sel:DWORD src1_sel:WORD_1
	v_add_f16_e32 v36, v49, v41
	v_sub_f16_e32 v41, v49, v41
	v_add_f16_e32 v49, v43, v18
	v_fmac_f16_e32 v42, v35, v37
	v_fma_f16 v28, v55, v37, -v28
	v_add_f16_e32 v35, v51, v46
	v_sub_f16_e32 v37, v51, v46
	v_add_f16_e32 v46, v56, v40
	v_sub_f16_e32 v40, v56, v40
	v_sub_f16_e32 v18, v43, v18
	v_add_f16_e32 v43, v53, v44
	v_sub_f16_e32 v44, v44, v53
	v_add_f16_e32 v53, v32, v28
	;; [unrolled: 2-line block ×5, first 2 shown]
	v_add_f16_e32 v51, v30, v45
	v_sub_f16_e32 v30, v45, v30
	v_add_f16_e32 v45, v31, v42
	v_sub_f16_e32 v31, v31, v42
	;; [unrolled: 2-line block ×5, first 2 shown]
	v_sub_f16_e32 v35, v35, v43
	v_sub_f16_e32 v46, v43, v46
	v_add_f16_e32 v39, v43, v39
	v_add_f16_e32 v43, v44, v40
	v_sub_f16_e32 v56, v49, v36
	v_sub_f16_e32 v36, v36, v51
	;; [unrolled: 1-line block ×3, first 2 shown]
	v_add_f16_e32 v47, v51, v47
	v_sub_f16_e32 v51, v44, v40
	v_sub_f16_e32 v44, v37, v44
	v_sub_f16_e32 v40, v40, v37
	v_add_f16_e32 v37, v43, v37
	v_add_f16_e32 v43, v30, v18
	v_sub_f16_e32 v57, v30, v18
	v_sub_f16_e32 v30, v41, v30
	v_sub_f16_e32 v18, v18, v41
	v_sub_f16_e32 v58, v32, v45
	v_add_f16_e32 v41, v43, v41
	v_add_f16_e32 v43, v32, v45
	v_sub_f16_e32 v45, v45, v33
	;; [unrolled: 6-line block ×3, first 2 shown]
	v_sub_f16_e32 v42, v54, v42
	v_sub_f16_e32 v61, v34, v19
	v_mul_f16_e32 v35, 0x3a52, v35
	v_add_f16_e32 v43, v54, v43
	v_add_f16_e32 v54, v38, v52
	v_sub_f16_e32 v38, v31, v38
	v_sub_f16_e32 v52, v52, v31
	v_mul_f16_e32 v36, 0x3a52, v36
	v_mul_f16_e32 v51, 0x3846, v51
	v_add_f16_e32 v31, v54, v31
	v_add_f16_e32 v54, v34, v19
	v_sub_f16_e32 v34, v28, v34
	v_sub_f16_e32 v19, v19, v28
	v_mul_f16_e32 v45, 0x3a52, v45
	v_mul_f16_e32 v53, 0x3a52, v53
	v_add_f16_e32 v28, v54, v28
	v_mul_f16_e32 v54, 0x2b26, v46
	v_fmamk_f16 v46, v46, 0x2b26, v35
	v_fma_f16 v35, v55, 0xb9e0, -v35
	v_lshl_add_u32 v29, v29, 2, v0
	v_fma_f16 v54, v55, 0x39e0, -v54
	v_mul_f16_e32 v55, 0x2b26, v49
	v_fmamk_f16 v49, v49, 0x2b26, v36
	v_fma_f16 v36, v56, 0xb9e0, -v36
	v_fma_f16 v55, v56, 0x39e0, -v55
	v_mul_f16_e32 v56, 0xbb00, v40
	v_fma_f16 v40, v40, 0xbb00, -v51
	v_fmamk_f16 v51, v44, 0xb574, v51
	v_fma_f16 v44, v44, 0x3574, -v56
	v_mul_f16_e32 v56, 0x3846, v57
	v_mul_f16_e32 v57, 0xbb00, v18
	v_fmac_f16_e32 v51, 0xb70e, v37
	v_fmac_f16_e32 v40, 0xb70e, v37
	;; [unrolled: 1-line block ×3, first 2 shown]
	v_fma_f16 v18, v18, 0xbb00, -v56
	v_fmamk_f16 v56, v30, 0xb574, v56
	v_fma_f16 v30, v30, 0x3574, -v57
	v_mul_f16_e32 v57, 0x2b26, v32
	v_fmamk_f16 v32, v32, 0x2b26, v45
	v_fma_f16 v45, v58, 0xb9e0, -v45
	v_fmac_f16_e32 v56, 0xb70e, v41
	v_fmac_f16_e32 v18, 0xb70e, v41
	v_fma_f16 v57, v58, 0x39e0, -v57
	v_mul_f16_e32 v58, 0x2b26, v42
	v_fmamk_f16 v42, v42, 0x2b26, v53
	v_fma_f16 v53, v59, 0xb9e0, -v53
	v_fmac_f16_e32 v30, 0xb70e, v41
	v_add_f16_sdwa v41, v43, v48 dst_sel:DWORD dst_unused:UNUSED_PAD src0_sel:DWORD src1_sel:WORD_1
	v_fma_f16 v58, v59, 0x39e0, -v58
	v_mul_f16_e32 v59, 0x3846, v60
	v_mul_f16_e32 v60, 0xbb00, v52
	v_fmamk_f16 v43, v43, 0xbcab, v41
	v_fma_f16 v52, v52, 0xbb00, -v59
	v_fmamk_f16 v59, v38, 0xb574, v59
	v_fma_f16 v38, v38, 0x3574, -v60
	v_mul_f16_e32 v60, 0x3846, v61
	v_mul_f16_e32 v61, 0xbb00, v19
	v_fmac_f16_e32 v52, 0xb70e, v31
	v_fmac_f16_e32 v59, 0xb70e, v31
	;; [unrolled: 1-line block ×3, first 2 shown]
	v_fma_f16 v19, v19, 0xbb00, -v60
	v_fmamk_f16 v60, v34, 0xb574, v60
	v_fma_f16 v34, v34, 0x3574, -v61
	v_fmac_f16_e32 v19, 0xb70e, v28
	v_fmac_f16_e32 v60, 0xb70e, v28
	;; [unrolled: 1-line block ×3, first 2 shown]
	ds_read_b32 v28, v20
	s_waitcnt lgkmcnt(0)
	s_barrier
	buffer_gl0_inv
	v_add_f16_e32 v31, v39, v28
	v_add_f16_sdwa v28, v47, v28 dst_sel:DWORD dst_unused:UNUSED_PAD src0_sel:DWORD src1_sel:WORD_1
	v_fmamk_f16 v37, v39, 0xbcab, v31
	v_fmamk_f16 v39, v47, 0xbcab, v28
	v_pack_b32_f16 v28, v31, v28
	v_add_f16_e32 v31, v33, v48
	v_add_f16_e32 v35, v35, v37
	;; [unrolled: 1-line block ×4, first 2 shown]
	v_fmamk_f16 v33, v33, 0xbcab, v31
	v_pack_b32_f16 v31, v31, v41
	v_add_f16_e32 v41, v46, v37
	v_add_f16_e32 v46, v54, v37
	v_add_f16_e32 v37, v49, v39
	v_lshrrev_b16 v39, 2, v3
	v_add_f16_e32 v32, v32, v33
	v_add_f16_e32 v48, v57, v33
	;; [unrolled: 1-line block ×3, first 2 shown]
	v_lshrrev_b16 v45, 2, v7
	v_and_b32_e32 v39, 63, v39
	v_sub_f16_e32 v54, v37, v51
	v_add_f16_e32 v37, v51, v37
	v_sub_f16_e32 v51, v48, v19
	v_and_b32_e32 v45, 63, v45
	v_mul_lo_u16 v39, v39, 37
	v_add_f16_e32 v19, v19, v48
	v_mul_lo_u16 v45, v45, 37
	v_lshrrev_b16 v49, 8, v39
	v_add_f16_e32 v39, v42, v43
	v_add_f16_e32 v42, v58, v43
	;; [unrolled: 1-line block ×3, first 2 shown]
	v_sub_f16_e32 v53, v46, v18
	v_add_f16_e32 v18, v18, v46
	v_add_f16_e32 v46, v40, v47
	v_sub_f16_e32 v40, v47, v40
	v_add_f16_e32 v47, v30, v35
	v_sub_f16_e32 v30, v35, v30
	v_sub_f16_e32 v35, v36, v44
	v_add_f16_e32 v36, v44, v36
	v_add_f16_e32 v44, v56, v41
	v_sub_f16_e32 v41, v41, v56
	v_mul_lo_u16 v56, v49, 28
	v_pack_b32_f16 v35, v47, v35
	v_add_f16_e32 v48, v52, v42
	v_pack_b32_f16 v44, v44, v54
	v_mov_b32_e32 v54, 6
	v_sub_nc_u16 v56, v3, v56
	v_sub_f16_e32 v42, v42, v52
	v_add_f16_e32 v52, v34, v33
	v_sub_f16_e32 v33, v33, v34
	v_sub_f16_e32 v34, v43, v38
	v_mul_u32_u24_sdwa v47, v56, v54 dst_sel:DWORD dst_unused:UNUSED_PAD src0_sel:BYTE_0 src1_sel:DWORD
	v_add_f16_e32 v38, v38, v43
	v_add_f16_e32 v43, v60, v32
	v_sub_f16_e32 v55, v39, v59
	v_sub_f16_e32 v32, v32, v60
	v_add_f16_e32 v39, v59, v39
	v_lshrrev_b16 v45, 8, v45
	v_pack_b32_f16 v46, v53, v46
	v_pack_b32_f16 v18, v18, v40
	;; [unrolled: 1-line block ×3, first 2 shown]
	v_lshlrev_b32_e32 v47, 2, v47
	v_pack_b32_f16 v36, v41, v37
	v_pack_b32_f16 v37, v43, v55
	;; [unrolled: 1-line block ×7, first 2 shown]
	ds_write2_b32 v50, v28, v44 offset1:4
	ds_write2_b32 v50, v35, v46 offset0:8 offset1:12
	ds_write2_b32 v50, v18, v30 offset0:16 offset1:20
	ds_write_b32 v50, v36 offset:96
	ds_write2_b32 v29, v31, v37 offset1:4
	ds_write2_b32 v29, v34, v40 offset0:8 offset1:12
	ds_write2_b32 v29, v19, v33 offset0:16 offset1:20
	ds_write_b32 v29, v32 offset:96
	v_mul_lo_u16 v18, v45, 28
	s_waitcnt lgkmcnt(0)
	s_barrier
	buffer_gl0_inv
	global_load_dwordx4 v[28:31], v47, s[12:13] offset:104
	v_sub_nc_u16 v40, v7, v18
	v_and_b32_e32 v45, 0xffff, v45
	v_mul_u32_u24_sdwa v18, v40, v54 dst_sel:DWORD dst_unused:UNUSED_PAD src0_sel:BYTE_0 src1_sel:DWORD
	v_mad_u32_u24 v45, 0x310, v45, 0
	v_lshlrev_b32_e32 v36, 2, v18
	s_clause 0x2
	global_load_dwordx4 v[32:35], v36, s[12:13] offset:104
	global_load_dwordx2 v[18:19], v47, s[12:13] offset:120
	global_load_dwordx2 v[36:37], v36, s[12:13] offset:120
	ds_read_b32 v41, v25
	ds_read_b32 v42, v22
	;; [unrolled: 1-line block ×3, first 2 shown]
	ds_read2_b32 v[38:39], v21 offset0:46 offset1:144
	ds_read_b32 v44, v26
	ds_read_b32 v46, v23
	;; [unrolled: 1-line block ×3, first 2 shown]
	s_waitcnt lgkmcnt(6)
	v_lshrrev_b32_e32 v48, 16, v41
	s_waitcnt lgkmcnt(5)
	v_lshrrev_b32_e32 v50, 16, v42
	;; [unrolled: 2-line block ×4, first 2 shown]
	s_waitcnt vmcnt(3)
	v_mul_f16_sdwa v51, v28, v48 dst_sel:DWORD dst_unused:UNUSED_PAD src0_sel:WORD_1 src1_sel:DWORD
	v_mul_f16_sdwa v53, v28, v41 dst_sel:DWORD dst_unused:UNUSED_PAD src0_sel:WORD_1 src1_sel:DWORD
	v_mul_f16_sdwa v55, v29, v50 dst_sel:DWORD dst_unused:UNUSED_PAD src0_sel:WORD_1 src1_sel:DWORD
	v_fmac_f16_e32 v51, v28, v41
	v_mul_f16_sdwa v41, v29, v42 dst_sel:DWORD dst_unused:UNUSED_PAD src0_sel:WORD_1 src1_sel:DWORD
	v_fma_f16 v48, v28, v48, -v53
	v_mul_f16_sdwa v53, v30, v52 dst_sel:DWORD dst_unused:UNUSED_PAD src0_sel:WORD_1 src1_sel:DWORD
	v_mul_f16_sdwa v28, v30, v43 dst_sel:DWORD dst_unused:UNUSED_PAD src0_sel:WORD_1 src1_sel:DWORD
	v_fmac_f16_e32 v55, v29, v42
	v_fma_f16 v41, v29, v50, -v41
	v_mul_f16_sdwa v29, v31, v39 dst_sel:DWORD dst_unused:UNUSED_PAD src0_sel:WORD_1 src1_sel:DWORD
	v_fmac_f16_e32 v53, v30, v43
	v_mul_f16_sdwa v42, v31, v54 dst_sel:DWORD dst_unused:UNUSED_PAD src0_sel:WORD_1 src1_sel:DWORD
	v_fma_f16 v43, v30, v52, -v28
	v_lshrrev_b32_e32 v30, 16, v38
	s_waitcnt lgkmcnt(1)
	v_lshrrev_b32_e32 v52, 16, v46
	v_fma_f16 v50, v31, v54, -v29
	v_fmac_f16_e32 v42, v31, v39
	ds_read2_b32 v[28:29], v12 offset0:114 offset1:212
	s_waitcnt vmcnt(2)
	v_mul_f16_sdwa v39, v30, v34 dst_sel:DWORD dst_unused:UNUSED_PAD src0_sel:DWORD src1_sel:WORD_1
	v_mul_f16_sdwa v54, v52, v32 dst_sel:DWORD dst_unused:UNUSED_PAD src0_sel:DWORD src1_sel:WORD_1
	;; [unrolled: 1-line block ×3, first 2 shown]
	v_fmac_f16_e32 v39, v38, v34
	v_mul_f16_sdwa v38, v46, v32 dst_sel:DWORD dst_unused:UNUSED_PAD src0_sel:DWORD src1_sel:WORD_1
	v_fmac_f16_e32 v54, v46, v32
	v_lshrrev_b32_e32 v46, 16, v44
	v_fma_f16 v34, v30, v34, -v31
	v_fma_f16 v32, v52, v32, -v38
	v_mul_f16_sdwa v38, v46, v33 dst_sel:DWORD dst_unused:UNUSED_PAD src0_sel:DWORD src1_sel:WORD_1
	v_fmac_f16_e32 v38, v44, v33
	v_mul_f16_sdwa v44, v44, v33 dst_sel:DWORD dst_unused:UNUSED_PAD src0_sel:DWORD src1_sel:WORD_1
	s_waitcnt lgkmcnt(0)
	v_mul_f16_sdwa v30, v28, v35 dst_sel:DWORD dst_unused:UNUSED_PAD src0_sel:DWORD src1_sel:WORD_1
	v_lshrrev_b32_e32 v52, 16, v29
	v_fma_f16 v33, v46, v33, -v44
	v_lshrrev_b32_e32 v44, 16, v28
	v_fma_f16 v46, v44, v35, -v30
	v_mul_f16_sdwa v44, v44, v35 dst_sel:DWORD dst_unused:UNUSED_PAD src0_sel:DWORD src1_sel:WORD_1
	ds_read2_b32 v[30:31], v16 offset0:54 offset1:152
	v_fmac_f16_e32 v44, v28, v35
	v_mov_b32_e32 v35, 2
	v_and_b32_e32 v28, 0xffff, v49
	v_lshlrev_b32_sdwa v49, v35, v56 dst_sel:DWORD dst_unused:UNUSED_PAD src0_sel:DWORD src1_sel:BYTE_0
	v_lshlrev_b32_sdwa v35, v35, v40 dst_sel:DWORD dst_unused:UNUSED_PAD src0_sel:DWORD src1_sel:BYTE_0
	ds_read_b32 v40, v8 offset:5096
	v_mad_u32_u24 v28, 0x310, v28, 0
	v_add3_u32 v28, v28, v49, v27
	s_waitcnt vmcnt(1)
	v_mul_f16_sdwa v49, v18, v52 dst_sel:DWORD dst_unused:UNUSED_PAD src0_sel:WORD_1 src1_sel:DWORD
	v_add3_u32 v27, v45, v35, v27
	v_mul_f16_sdwa v35, v18, v29 dst_sel:DWORD dst_unused:UNUSED_PAD src0_sel:WORD_1 src1_sel:DWORD
	s_waitcnt lgkmcnt(1)
	v_lshrrev_b32_e32 v45, 16, v31
	v_mul_f16_sdwa v56, v31, v19 dst_sel:DWORD dst_unused:UNUSED_PAD src0_sel:DWORD src1_sel:WORD_1
	v_fmac_f16_e32 v49, v18, v29
	v_lshrrev_b32_e32 v29, 16, v30
	v_fma_f16 v18, v18, v52, -v35
	v_mul_f16_sdwa v35, v45, v19 dst_sel:DWORD dst_unused:UNUSED_PAD src0_sel:DWORD src1_sel:WORD_1
	v_fma_f16 v45, v45, v19, -v56
	s_waitcnt vmcnt(0)
	v_mul_f16_sdwa v52, v29, v36 dst_sel:DWORD dst_unused:UNUSED_PAD src0_sel:DWORD src1_sel:WORD_1
	v_fmac_f16_e32 v35, v31, v19
	s_waitcnt lgkmcnt(0)
	v_lshrrev_b32_e32 v19, 16, v40
	v_mul_f16_sdwa v31, v30, v36 dst_sel:DWORD dst_unused:UNUSED_PAD src0_sel:DWORD src1_sel:WORD_1
	v_fmac_f16_e32 v52, v30, v36
	v_mul_f16_sdwa v56, v40, v37 dst_sel:DWORD dst_unused:UNUSED_PAD src0_sel:DWORD src1_sel:WORD_1
	v_mul_f16_sdwa v30, v19, v37 dst_sel:DWORD dst_unused:UNUSED_PAD src0_sel:DWORD src1_sel:WORD_1
	v_fma_f16 v29, v29, v36, -v31
	v_add_f16_e32 v31, v51, v35
	v_fma_f16 v19, v19, v37, -v56
	v_add_f16_e32 v36, v48, v45
	v_fmac_f16_e32 v30, v40, v37
	v_add_f16_e32 v40, v55, v49
	v_sub_f16_e32 v37, v48, v45
	v_add_f16_e32 v45, v41, v18
	v_sub_f16_e32 v48, v55, v49
	v_sub_f16_e32 v18, v41, v18
	v_add_f16_e32 v41, v53, v42
	v_add_f16_e32 v49, v43, v50
	v_sub_f16_e32 v42, v42, v53
	v_sub_f16_e32 v43, v50, v43
	v_add_f16_e32 v53, v33, v29
	v_sub_f16_e32 v29, v33, v29
	v_add_f16_e32 v33, v39, v44
	;; [unrolled: 2-line block ×4, first 2 shown]
	v_add_f16_e32 v51, v32, v19
	v_sub_f16_e32 v30, v54, v30
	v_sub_f16_e32 v19, v32, v19
	v_add_f16_e32 v32, v38, v52
	v_sub_f16_e32 v38, v38, v52
	v_add_f16_e32 v52, v34, v46
	;; [unrolled: 2-line block ×3, first 2 shown]
	v_sub_f16_e32 v54, v40, v31
	v_sub_f16_e32 v31, v31, v41
	;; [unrolled: 1-line block ×3, first 2 shown]
	v_add_f16_e32 v56, v42, v48
	v_add_f16_e32 v41, v41, v44
	;; [unrolled: 1-line block ×3, first 2 shown]
	v_sub_f16_e32 v55, v45, v36
	v_sub_f16_e32 v36, v36, v49
	v_sub_f16_e32 v45, v49, v45
	v_add_f16_e32 v46, v49, v46
	v_sub_f16_e32 v49, v42, v48
	v_sub_f16_e32 v42, v35, v42
	v_sub_f16_e32 v48, v48, v35
	v_add_f16_e32 v35, v56, v35
	;; [unrolled: 4-line block ×3, first 2 shown]
	v_add_f16_e32 v44, v32, v50
	v_sub_f16_e32 v57, v32, v50
	v_sub_f16_e32 v50, v50, v33
	;; [unrolled: 1-line block ×4, first 2 shown]
	v_add_f16_e32 v33, v33, v44
	v_add_f16_e32 v44, v53, v51
	v_sub_f16_e32 v51, v51, v52
	v_sub_f16_e32 v53, v52, v53
	;; [unrolled: 1-line block ×4, first 2 shown]
	v_add_f16_e32 v44, v52, v44
	v_add_f16_e32 v52, v39, v38
	v_sub_f16_e32 v39, v30, v39
	v_sub_f16_e32 v38, v38, v30
	v_mul_f16_e32 v31, 0x3a52, v31
	v_mul_f16_e32 v36, 0x3a52, v36
	v_add_f16_e32 v30, v52, v30
	v_add_f16_e32 v52, v34, v29
	v_sub_f16_e32 v34, v19, v34
	v_sub_f16_e32 v29, v29, v19
	v_mul_f16_e32 v49, 0x3846, v49
	v_mul_f16_e32 v51, 0x3a52, v51
	v_add_f16_e32 v19, v52, v19
	v_mul_f16_e32 v52, 0x2b26, v40
	v_fmamk_f16 v40, v40, 0x2b26, v31
	v_fma_f16 v31, v54, 0xb9e0, -v31
	v_fma_f16 v52, v54, 0x39e0, -v52
	v_mul_f16_e32 v54, 0x2b26, v45
	v_fmamk_f16 v45, v45, 0x2b26, v36
	v_fma_f16 v36, v55, 0xb9e0, -v36
	v_fma_f16 v54, v55, 0x39e0, -v54
	v_mul_f16_e32 v55, 0xbb00, v48
	v_fma_f16 v48, v48, 0xbb00, -v49
	v_fmamk_f16 v49, v42, 0xb574, v49
	v_fma_f16 v42, v42, 0x3574, -v55
	v_mul_f16_e32 v55, 0x3846, v56
	v_mul_f16_e32 v56, 0xbb00, v18
	v_fmac_f16_e32 v49, 0xb70e, v35
	v_fmac_f16_e32 v48, 0xb70e, v35
	;; [unrolled: 1-line block ×3, first 2 shown]
	v_fma_f16 v61, v18, 0xbb00, -v55
	v_fmamk_f16 v55, v43, 0xb574, v55
	v_fma_f16 v43, v43, 0x3574, -v56
	v_mul_f16_e32 v18, 0x3a52, v50
	v_mul_f16_e32 v50, 0x2b26, v32
	;; [unrolled: 1-line block ×3, first 2 shown]
	v_fmamk_f16 v53, v53, 0x2b26, v51
	v_fma_f16 v51, v58, 0xb9e0, -v51
	v_fmamk_f16 v32, v32, 0x2b26, v18
	v_fma_f16 v50, v57, 0x39e0, -v50
	v_fma_f16 v18, v57, 0xb9e0, -v18
	;; [unrolled: 1-line block ×3, first 2 shown]
	v_mul_f16_e32 v57, 0x3846, v59
	v_mul_f16_e32 v58, 0xbb00, v38
	;; [unrolled: 1-line block ×3, first 2 shown]
	v_fmac_f16_e32 v55, 0xb70e, v37
	v_fmac_f16_e32 v61, 0xb70e, v37
	v_fma_f16 v38, v38, 0xbb00, -v57
	v_fmamk_f16 v57, v39, 0xb574, v57
	v_fma_f16 v39, v39, 0x3574, -v58
	v_mul_f16_e32 v58, 0x3846, v60
	v_fmac_f16_e32 v43, 0xb70e, v37
	v_fmac_f16_e32 v38, 0xb70e, v30
	;; [unrolled: 1-line block ×4, first 2 shown]
	v_fma_f16 v29, v29, 0xbb00, -v58
	v_fmamk_f16 v58, v34, 0xb574, v58
	v_fma_f16 v34, v34, 0x3574, -v59
	v_fmac_f16_e32 v29, 0xb70e, v19
	v_fmac_f16_e32 v58, 0xb70e, v19
	;; [unrolled: 1-line block ×3, first 2 shown]
	ds_read_b32 v19, v20
	s_waitcnt lgkmcnt(0)
	s_barrier
	buffer_gl0_inv
	v_add_f16_e32 v30, v41, v19
	v_add_f16_sdwa v19, v46, v19 dst_sel:DWORD dst_unused:UNUSED_PAD src0_sel:DWORD src1_sel:WORD_1
	v_fmamk_f16 v35, v41, 0xbcab, v30
	v_fmamk_f16 v37, v46, 0xbcab, v19
	v_pack_b32_f16 v30, v30, v19
	v_add_f16_e32 v19, v33, v47
	v_add_f16_sdwa v41, v44, v47 dst_sel:DWORD dst_unused:UNUSED_PAD src0_sel:DWORD src1_sel:WORD_1
	v_add_f16_e32 v40, v40, v35
	v_add_f16_e32 v46, v52, v35
	;; [unrolled: 1-line block ×3, first 2 shown]
	v_fmamk_f16 v33, v33, 0xbcab, v19
	v_fmamk_f16 v44, v44, 0xbcab, v41
	v_mul_u32_u24_e32 v35, 6, v3
	v_add_f16_e32 v45, v45, v37
	v_add_f16_e32 v47, v54, v37
	;; [unrolled: 1-line block ×6, first 2 shown]
	v_lshlrev_b32_e32 v50, 2, v35
	v_add_f16_e32 v35, v53, v44
	v_add_f16_e32 v52, v56, v44
	;; [unrolled: 1-line block ×4, first 2 shown]
	v_sub_f16_e32 v47, v47, v48
	v_add_f16_e32 v48, v43, v31
	v_sub_f16_e32 v31, v31, v43
	v_sub_f16_e32 v43, v36, v42
	v_add_f16_e32 v36, v42, v36
	v_add_f16_e32 v42, v55, v40
	v_sub_f16_e32 v54, v45, v49
	v_sub_f16_e32 v51, v46, v61
	v_add_f16_e32 v46, v61, v46
	v_sub_f16_e32 v40, v40, v55
	v_add_f16_e32 v45, v49, v45
	;; [unrolled: 2-line block ×3, first 2 shown]
	v_add_f16_e32 v37, v38, v52
	v_sub_f16_e32 v38, v52, v38
	v_add_f16_e32 v52, v34, v33
	v_sub_f16_e32 v33, v33, v34
	v_sub_f16_e32 v34, v44, v39
	v_add_f16_e32 v39, v39, v44
	v_add_f16_e32 v44, v58, v32
	v_sub_f16_e32 v32, v32, v58
	v_sub_f16_e32 v55, v35, v57
	v_add_f16_e32 v35, v57, v35
	v_pack_b32_f16 v41, v19, v41
	v_mul_i32_i24_e32 v18, 6, v7
	v_mov_b32_e32 v19, 0
	v_pack_b32_f16 v42, v42, v54
	v_pack_b32_f16 v43, v48, v43
	;; [unrolled: 1-line block ×12, first 2 shown]
	ds_write2_b32 v28, v30, v42 offset1:28
	ds_write2_b32 v28, v43, v48 offset0:56 offset1:84
	ds_write2_b32 v28, v46, v31 offset0:112 offset1:140
	ds_write_b32 v28, v36 offset:672
	ds_write2_b32 v27, v41, v40 offset1:28
	ds_write2_b32 v27, v34, v37 offset0:56 offset1:84
	ds_write2_b32 v27, v29, v33 offset0:112 offset1:140
	ds_write_b32 v27, v32 offset:672
	v_lshlrev_b64 v[31:32], 2, v[18:19]
	s_waitcnt lgkmcnt(0)
	s_barrier
	buffer_gl0_inv
	global_load_dwordx4 v[27:30], v50, s[12:13] offset:776
	v_add_nc_u32_e32 v42, 0x600, v14
	v_add_co_u32 v35, s0, s12, v31
	v_add_co_ci_u32_e64 v36, s0, s13, v32, s0
	s_clause 0x2
	global_load_dwordx4 v[31:34], v[35:36], off offset:776
	global_load_dwordx2 v[37:38], v50, s[12:13] offset:792
	global_load_dwordx2 v[35:36], v[35:36], off offset:792
	ds_read_b32 v18, v25
	ds_read2_b32 v[39:40], v16 offset0:54 offset1:152
	ds_read_b32 v16, v26
	ds_read_b32 v23, v23
	ds_read2_b32 v[25:26], v21 offset0:46 offset1:144
	ds_read_b32 v41, v22
	ds_read_b32 v24, v24
	;; [unrolled: 1-line block ×3, first 2 shown]
	ds_read2_b32 v[21:22], v12 offset0:114 offset1:212
	ds_read_b32 v44, v14
	ds_read_b32 v45, v8 offset:5096
	s_waitcnt vmcnt(0) lgkmcnt(0)
	s_barrier
	buffer_gl0_inv
	v_lshrrev_b32_e32 v46, 16, v18
	v_lshrrev_b32_e32 v47, 16, v40
	;; [unrolled: 1-line block ×7, first 2 shown]
	v_mul_f16_sdwa v51, v27, v46 dst_sel:DWORD dst_unused:UNUSED_PAD src0_sel:WORD_1 src1_sel:DWORD
	v_mul_f16_sdwa v53, v27, v18 dst_sel:DWORD dst_unused:UNUSED_PAD src0_sel:WORD_1 src1_sel:DWORD
	;; [unrolled: 1-line block ×3, first 2 shown]
	v_fmac_f16_e32 v51, v27, v18
	v_mul_f16_sdwa v18, v28, v41 dst_sel:DWORD dst_unused:UNUSED_PAD src0_sel:WORD_1 src1_sel:DWORD
	v_fma_f16 v27, v27, v46, -v53
	v_mul_f16_sdwa v46, v29, v52 dst_sel:DWORD dst_unused:UNUSED_PAD src0_sel:WORD_1 src1_sel:DWORD
	v_fmac_f16_e32 v55, v28, v41
	v_mul_f16_sdwa v41, v29, v24 dst_sel:DWORD dst_unused:UNUSED_PAD src0_sel:WORD_1 src1_sel:DWORD
	v_fma_f16 v18, v28, v50, -v18
	v_mul_f16_sdwa v28, v30, v26 dst_sel:DWORD dst_unused:UNUSED_PAD src0_sel:WORD_1 src1_sel:DWORD
	v_fmac_f16_e32 v46, v29, v24
	v_mul_f16_sdwa v24, v30, v54 dst_sel:DWORD dst_unused:UNUSED_PAD src0_sel:WORD_1 src1_sel:DWORD
	v_fma_f16 v29, v29, v52, -v41
	v_lshrrev_b32_e32 v41, 16, v16
	v_mul_f16_sdwa v52, v48, v31 dst_sel:DWORD dst_unused:UNUSED_PAD src0_sel:DWORD src1_sel:WORD_1
	v_fma_f16 v28, v30, v54, -v28
	v_fmac_f16_e32 v24, v30, v26
	v_lshrrev_b32_e32 v26, 16, v21
	v_mul_f16_sdwa v53, v23, v31 dst_sel:DWORD dst_unused:UNUSED_PAD src0_sel:DWORD src1_sel:WORD_1
	v_mul_f16_sdwa v54, v41, v32 dst_sel:DWORD dst_unused:UNUSED_PAD src0_sel:DWORD src1_sel:WORD_1
	v_fmac_f16_e32 v52, v23, v31
	v_mul_f16_sdwa v23, v16, v32 dst_sel:DWORD dst_unused:UNUSED_PAD src0_sel:DWORD src1_sel:WORD_1
	v_mul_f16_sdwa v50, v49, v33 dst_sel:DWORD dst_unused:UNUSED_PAD src0_sel:DWORD src1_sel:WORD_1
	v_fma_f16 v31, v48, v31, -v53
	v_lshrrev_b32_e32 v48, 16, v22
	v_fmac_f16_e32 v54, v16, v32
	v_mul_f16_sdwa v16, v21, v34 dst_sel:DWORD dst_unused:UNUSED_PAD src0_sel:DWORD src1_sel:WORD_1
	v_fma_f16 v23, v41, v32, -v23
	v_mul_f16_sdwa v32, v26, v34 dst_sel:DWORD dst_unused:UNUSED_PAD src0_sel:DWORD src1_sel:WORD_1
	v_lshrrev_b32_e32 v30, 16, v39
	v_fmac_f16_e32 v50, v25, v33
	v_mul_f16_sdwa v25, v25, v33 dst_sel:DWORD dst_unused:UNUSED_PAD src0_sel:DWORD src1_sel:WORD_1
	v_fma_f16 v16, v26, v34, -v16
	v_mul_f16_sdwa v26, v37, v48 dst_sel:DWORD dst_unused:UNUSED_PAD src0_sel:WORD_1 src1_sel:DWORD
	v_fmac_f16_e32 v32, v21, v34
	v_mul_f16_sdwa v21, v37, v22 dst_sel:DWORD dst_unused:UNUSED_PAD src0_sel:WORD_1 src1_sel:DWORD
	v_mul_f16_sdwa v34, v47, v38 dst_sel:DWORD dst_unused:UNUSED_PAD src0_sel:DWORD src1_sel:WORD_1
	v_mul_f16_sdwa v41, v40, v38 dst_sel:DWORD dst_unused:UNUSED_PAD src0_sel:DWORD src1_sel:WORD_1
	v_fma_f16 v25, v49, v33, -v25
	v_lshrrev_b32_e32 v33, 16, v45
	v_mul_f16_sdwa v49, v30, v35 dst_sel:DWORD dst_unused:UNUSED_PAD src0_sel:DWORD src1_sel:WORD_1
	v_fmac_f16_e32 v26, v37, v22
	v_mul_f16_sdwa v22, v39, v35 dst_sel:DWORD dst_unused:UNUSED_PAD src0_sel:DWORD src1_sel:WORD_1
	v_fma_f16 v21, v37, v48, -v21
	v_mul_f16_sdwa v37, v45, v36 dst_sel:DWORD dst_unused:UNUSED_PAD src0_sel:DWORD src1_sel:WORD_1
	v_fmac_f16_e32 v34, v40, v38
	v_fma_f16 v38, v47, v38, -v41
	v_mul_f16_sdwa v53, v33, v36 dst_sel:DWORD dst_unused:UNUSED_PAD src0_sel:DWORD src1_sel:WORD_1
	v_fmac_f16_e32 v49, v39, v35
	v_fma_f16 v22, v30, v35, -v22
	v_fma_f16 v30, v33, v36, -v37
	v_add_f16_e32 v35, v27, v38
	v_sub_f16_e32 v27, v27, v38
	v_add_f16_e32 v37, v18, v21
	v_sub_f16_e32 v18, v18, v21
	;; [unrolled: 2-line block ×3, first 2 shown]
	v_fmac_f16_e32 v53, v45, v36
	v_add_f16_e32 v33, v51, v34
	v_sub_f16_e32 v34, v51, v34
	v_add_f16_e32 v21, v46, v24
	v_sub_f16_e32 v24, v24, v46
	v_add_f16_e32 v39, v31, v30
	v_add_f16_e32 v41, v23, v22
	v_sub_f16_e32 v22, v23, v22
	v_add_f16_e32 v46, v25, v16
	v_sub_f16_e32 v16, v16, v25
	v_add_f16_e32 v51, v28, v18
	v_add_f16_e32 v36, v55, v26
	v_sub_f16_e32 v26, v55, v26
	v_add_f16_e32 v29, v52, v53
	v_sub_f16_e32 v40, v52, v53
	v_sub_f16_e32 v30, v31, v30
	v_add_f16_e32 v31, v54, v49
	v_sub_f16_e32 v45, v54, v49
	v_add_f16_e32 v47, v37, v35
	v_sub_f16_e32 v49, v37, v35
	v_sub_f16_e32 v35, v35, v38
	v_sub_f16_e32 v37, v38, v37
	v_sub_f16_e32 v53, v28, v18
	v_sub_f16_e32 v28, v27, v28
	v_sub_f16_e32 v18, v18, v27
	v_add_f16_e32 v55, v41, v39
	v_add_f16_e32 v27, v51, v27
	;; [unrolled: 1-line block ×4, first 2 shown]
	v_sub_f16_e32 v47, v41, v39
	v_sub_f16_e32 v39, v39, v46
	;; [unrolled: 1-line block ×3, first 2 shown]
	v_add_f16_e32 v46, v46, v55
	v_sub_f16_e32 v55, v16, v22
	v_sub_f16_e32 v16, v30, v16
	;; [unrolled: 1-line block ×3, first 2 shown]
	v_mul_f16_e32 v35, 0x3a52, v35
	v_add_f16_e32 v30, v51, v30
	v_mul_f16_e32 v51, 0x2b26, v37
	v_add_f16_e32 v23, v50, v32
	v_sub_f16_e32 v32, v32, v50
	v_add_f16_e32 v50, v24, v26
	v_add_f16_e32 v25, v36, v33
	;; [unrolled: 1-line block ×3, first 2 shown]
	v_mul_f16_e32 v53, 0x3846, v53
	v_fmamk_f16 v37, v37, 0x2b26, v35
	v_fma_f16 v51, v49, 0x39e0, -v51
	v_fma_f16 v35, v49, 0xb9e0, -v35
	v_mul_f16_e32 v49, 0xbb00, v18
	v_sub_f16_e32 v48, v36, v33
	v_sub_f16_e32 v33, v33, v21
	;; [unrolled: 1-line block ×6, first 2 shown]
	v_add_f16_e32 v34, v50, v34
	v_add_f16_e32 v50, v32, v45
	;; [unrolled: 1-line block ×3, first 2 shown]
	v_sub_f16_e32 v25, v31, v29
	v_sub_f16_e32 v29, v29, v23
	;; [unrolled: 1-line block ×3, first 2 shown]
	v_add_f16_e32 v23, v23, v54
	v_sub_f16_e32 v54, v32, v45
	v_sub_f16_e32 v45, v45, v40
	v_mul_f16_e32 v39, 0x3a52, v39
	v_fma_f16 v18, v18, 0xbb00, -v53
	v_fmamk_f16 v53, v28, 0xb574, v53
	v_fma_f16 v28, v28, 0x3574, -v49
	v_mul_f16_e32 v49, 0x2b26, v41
	v_sub_f16_e32 v32, v40, v32
	v_mul_f16_e32 v33, 0x3a52, v33
	v_add_f16_e32 v40, v50, v40
	v_mul_f16_e32 v50, 0x2b26, v36
	v_mul_f16_e32 v54, 0x3846, v54
	v_fmamk_f16 v41, v41, 0x2b26, v39
	v_fma_f16 v49, v47, 0x39e0, -v49
	v_fma_f16 v39, v47, 0xb9e0, -v39
	v_mul_f16_e32 v47, 0xbb00, v45
	v_mul_f16_e32 v52, 0x3846, v52
	v_fmamk_f16 v36, v36, 0x2b26, v33
	v_fma_f16 v50, v48, 0x39e0, -v50
	v_fma_f16 v33, v48, 0xb9e0, -v33
	v_mul_f16_e32 v48, 0xbb00, v26
	v_mul_f16_e32 v55, 0x3846, v55
	v_fma_f16 v45, v45, 0xbb00, -v54
	v_fmamk_f16 v54, v32, 0xb574, v54
	v_fma_f16 v32, v32, 0x3574, -v47
	v_mul_f16_e32 v47, 0xbb00, v22
	v_fma_f16 v26, v26, 0xbb00, -v52
	v_fmamk_f16 v52, v24, 0xb574, v52
	v_fma_f16 v24, v24, 0x3574, -v48
	v_fma_f16 v22, v22, 0xbb00, -v55
	v_fmamk_f16 v55, v16, 0xb574, v55
	v_fma_f16 v16, v16, 0x3574, -v47
	v_add_f16_e32 v47, v21, v43
	v_add_f16_sdwa v43, v38, v43 dst_sel:DWORD dst_unused:UNUSED_PAD src0_sel:DWORD src1_sel:WORD_1
	v_mul_f16_e32 v29, 0x3a52, v29
	v_fmac_f16_e32 v52, 0xb70e, v34
	v_fmac_f16_e32 v26, 0xb70e, v34
	;; [unrolled: 1-line block ×3, first 2 shown]
	v_add_f16_e32 v34, v23, v44
	v_add_f16_sdwa v44, v46, v44 dst_sel:DWORD dst_unused:UNUSED_PAD src0_sel:DWORD src1_sel:WORD_1
	v_mul_f16_e32 v48, 0x2b26, v31
	v_fmamk_f16 v21, v21, 0xbcab, v47
	v_fmamk_f16 v38, v38, 0xbcab, v43
	;; [unrolled: 1-line block ×3, first 2 shown]
	v_fmac_f16_e32 v53, 0xb70e, v27
	v_fmac_f16_e32 v18, 0xb70e, v27
	;; [unrolled: 1-line block ×3, first 2 shown]
	v_fmamk_f16 v23, v23, 0xbcab, v34
	v_fmamk_f16 v27, v46, 0xbcab, v44
	v_fma_f16 v48, v25, 0x39e0, -v48
	v_fma_f16 v25, v25, 0xb9e0, -v29
	v_add_f16_e32 v36, v36, v21
	v_add_f16_e32 v37, v37, v38
	v_fmac_f16_e32 v54, 0xb70e, v40
	v_fmac_f16_e32 v55, 0xb70e, v30
	;; [unrolled: 1-line block ×6, first 2 shown]
	v_pack_b32_f16 v30, v47, v43
	v_add_f16_e32 v40, v50, v21
	v_add_f16_e32 v43, v51, v38
	;; [unrolled: 1-line block ×11, first 2 shown]
	v_sub_f16_e32 v39, v37, v52
	v_pack_b32_f16 v34, v34, v44
	v_add_f16_e32 v44, v28, v21
	v_sub_f16_e32 v46, v33, v24
	v_sub_f16_e32 v47, v40, v18
	v_add_f16_e32 v48, v26, v43
	v_add_f16_e32 v18, v18, v40
	v_sub_f16_e32 v26, v43, v26
	v_sub_f16_e32 v21, v21, v28
	v_add_f16_e32 v24, v24, v33
	v_sub_f16_e32 v28, v36, v53
	v_add_f16_e32 v33, v52, v37
	v_add_f16_e32 v36, v55, v31
	v_sub_f16_e32 v37, v35, v54
	v_add_f16_e32 v40, v16, v23
	v_sub_f16_e32 v43, v25, v32
	v_sub_f16_e32 v49, v38, v22
	v_add_f16_e32 v50, v45, v41
	v_add_f16_e32 v22, v22, v38
	v_sub_f16_e32 v38, v41, v45
	v_sub_f16_e32 v16, v23, v16
	v_add_f16_e32 v23, v32, v25
	v_sub_f16_e32 v25, v31, v55
	v_add_f16_e32 v31, v54, v35
	v_pack_b32_f16 v27, v27, v39
	v_pack_b32_f16 v32, v44, v46
	;; [unrolled: 1-line block ×7, first 2 shown]
	v_add_nc_u32_e32 v29, 0xc00, v14
	v_pack_b32_f16 v28, v40, v43
	v_pack_b32_f16 v33, v49, v50
	;; [unrolled: 1-line block ×5, first 2 shown]
	ds_write2_b32 v8, v30, v27 offset1:196
	ds_write2_b32 v10, v32, v35 offset0:8 offset1:204
	ds_write2_b32 v12, v18, v21 offset0:16 offset1:212
	ds_write_b32 v8, v24 offset:4704
	ds_write2_b32 v14, v34, v26 offset1:196
	ds_write2_b32 v42, v28, v33 offset0:8 offset1:204
	ds_write2_b32 v29, v22, v16 offset0:16 offset1:212
	ds_write_b32 v14, v23 offset:4704
	s_waitcnt lgkmcnt(0)
	s_barrier
	buffer_gl0_inv
	ds_read_b32 v8, v20
	v_sub_nc_u32_e32 v21, v0, v4
                                        ; implicit-def: $vgpr22
                                        ; implicit-def: $vgpr4
                                        ; implicit-def: $vgpr23
	v_cmpx_ne_u32_e32 0, v3
	s_xor_b32 s5, exec_lo, s5
	s_cbranch_execz .LBB0_15
; %bb.14:
	v_mov_b32_e32 v4, v19
	ds_read_b32 v10, v21 offset:5488
	v_lshlrev_b64 v[18:19], 2, v[3:4]
	v_add_co_u32 v18, s0, s1, v18
	v_add_co_ci_u32_e64 v19, s0, s4, v19, s0
	global_load_dword v4, v[18:19], off
	s_waitcnt lgkmcnt(0)
	v_pk_add_f16 v12, v8, v10 neg_lo:[0,1] neg_hi:[0,1]
	v_pk_add_f16 v8, v10, v8
	v_bfi_b32 v10, 0xffff, v12, v8
	v_bfi_b32 v8, 0xffff, v8, v12
	v_pk_mul_f16 v10, v10, 0.5 op_sel_hi:[1,0]
	v_pk_mul_f16 v14, v8, 0.5 op_sel_hi:[1,0]
	s_waitcnt vmcnt(0)
	v_pk_mul_f16 v12, v4, v10 op_sel:[1,0]
	v_pk_mul_f16 v10, v4, v10 op_sel_hi:[0,1]
	v_pk_fma_f16 v4, v8, 0.5, v12 op_sel_hi:[1,0,1]
	v_sub_f16_e32 v8, v14, v12
	v_sub_f16_sdwa v12, v12, v14 dst_sel:DWORD dst_unused:UNUSED_PAD src0_sel:WORD_1 src1_sel:WORD_1
	v_pk_add_f16 v16, v4, v10 op_sel:[0,1] op_sel_hi:[1,0]
	v_pk_add_f16 v18, v4, v10 op_sel:[0,1] op_sel_hi:[1,0] neg_lo:[0,1] neg_hi:[0,1]
	v_sub_f16_sdwa v4, v8, v10 dst_sel:DWORD dst_unused:UNUSED_PAD src0_sel:DWORD src1_sel:WORD_1
	v_sub_f16_e32 v23, v12, v10
                                        ; implicit-def: $vgpr8
	v_bfi_b32 v22, 0xffff, v16, v18
.LBB0_15:
	s_andn2_saveexec_b32 s0, s5
	s_cbranch_execz .LBB0_17
; %bb.16:
	ds_read_u16 v10, v0 offset:2746
	s_waitcnt lgkmcnt(1)
	v_alignbit_b32 v4, s0, v8, 16
	v_mov_b32_e32 v23, 0
	v_pk_add_f16 v12, v4, v8
	v_sub_f16_sdwa v4, v8, v8 dst_sel:DWORD dst_unused:UNUSED_PAD src0_sel:DWORD src1_sel:WORD_1
	v_pack_b32_f16 v22, v12, 0
	s_waitcnt lgkmcnt(0)
	v_xor_b32_e32 v8, 0x8000, v10
	ds_write_b16 v0, v8 offset:2746
.LBB0_17:
	s_or_b32 exec_lo, exec_lo, s0
	s_waitcnt lgkmcnt(0)
	v_mov_b32_e32 v8, 0
	ds_write_b16 v21, v23 offset:5490
	v_lshlrev_b64 v[18:19], 2, v[7:8]
	v_mov_b32_e32 v16, v8
	v_mov_b32_e32 v14, v8
	;; [unrolled: 1-line block ×4, first 2 shown]
	v_lshl_add_u32 v7, v7, 2, v0
	v_add_co_u32 v18, s0, s1, v18
	v_add_co_ci_u32_e64 v19, s0, s4, v19, s0
	global_load_dword v24, v[18:19], off
	v_mov_b32_e32 v18, v8
	v_lshlrev_b64 v[18:19], 2, v[17:18]
	v_lshl_add_u32 v17, v17, 2, v0
	v_add_co_u32 v18, s0, s1, v18
	v_add_co_ci_u32_e64 v19, s0, s4, v19, s0
	global_load_dword v25, v[18:19], off
	v_lshlrev_b64 v[18:19], 2, v[15:16]
	v_add_co_u32 v18, s0, s1, v18
	v_add_co_ci_u32_e64 v19, s0, s4, v19, s0
	global_load_dword v16, v[18:19], off
	v_lshlrev_b64 v[18:19], 2, v[13:14]
	v_lshl_add_u32 v13, v13, 2, v0
	v_add_co_u32 v18, s0, s1, v18
	v_add_co_ci_u32_e64 v19, s0, s4, v19, s0
	global_load_dword v14, v[18:19], off
	v_lshlrev_b64 v[18:19], 2, v[11:12]
	v_add_co_u32 v18, s0, s1, v18
	v_add_co_ci_u32_e64 v19, s0, s4, v19, s0
	global_load_dword v12, v[18:19], off
	v_lshlrev_b64 v[18:19], 2, v[9:10]
	ds_write_b32 v20, v22
	ds_write_b16 v21, v4 offset:5488
	ds_read_b32 v4, v7
	ds_read_b32 v10, v21 offset:5096
	v_lshl_add_u32 v9, v9, 2, v0
	v_add_co_u32 v18, s0, s1, v18
	v_add_co_ci_u32_e64 v19, s0, s4, v19, s0
	global_load_dword v18, v[18:19], off
	s_waitcnt lgkmcnt(0)
	v_pk_add_f16 v19, v4, v10 neg_lo:[0,1] neg_hi:[0,1]
	v_pk_add_f16 v4, v4, v10
	v_bfi_b32 v10, 0xffff, v19, v4
	v_bfi_b32 v4, 0xffff, v4, v19
	v_pk_mul_f16 v10, v10, 0.5 op_sel_hi:[1,0]
	v_pk_mul_f16 v4, v4, 0.5 op_sel_hi:[1,0]
	s_waitcnt vmcnt(5)
	v_pk_fma_f16 v19, v24, v10, v4 op_sel:[1,0,0]
	v_pk_mul_f16 v20, v24, v10 op_sel_hi:[0,1]
	v_pk_fma_f16 v22, v24, v10, v4 op_sel:[1,0,0] neg_lo:[1,0,0] neg_hi:[1,0,0]
	v_pk_fma_f16 v4, v24, v10, v4 op_sel:[1,0,0] neg_lo:[0,0,1] neg_hi:[0,0,1]
	v_pk_add_f16 v10, v19, v20 op_sel:[0,1] op_sel_hi:[1,0]
	v_pk_add_f16 v19, v19, v20 op_sel:[0,1] op_sel_hi:[1,0] neg_lo:[0,1] neg_hi:[0,1]
	v_pk_add_f16 v22, v22, v20 op_sel:[0,1] op_sel_hi:[1,0] neg_lo:[0,1] neg_hi:[0,1]
	;; [unrolled: 1-line block ×3, first 2 shown]
	v_bfi_b32 v10, 0xffff, v10, v19
	v_bfi_b32 v4, 0xffff, v22, v4
	ds_write_b32 v7, v10
	ds_write_b32 v21, v4 offset:5096
	ds_read_b32 v4, v17
	ds_read_b32 v7, v21 offset:4704
	s_waitcnt lgkmcnt(0)
	v_pk_add_f16 v10, v4, v7 neg_lo:[0,1] neg_hi:[0,1]
	v_pk_add_f16 v4, v4, v7
	v_bfi_b32 v7, 0xffff, v10, v4
	v_bfi_b32 v4, 0xffff, v4, v10
	v_pk_mul_f16 v7, v7, 0.5 op_sel_hi:[1,0]
	v_pk_mul_f16 v4, v4, 0.5 op_sel_hi:[1,0]
	s_waitcnt vmcnt(4)
	v_pk_mul_f16 v19, v25, v7 op_sel_hi:[0,1]
	v_pk_fma_f16 v10, v25, v7, v4 op_sel:[1,0,0]
	v_pk_fma_f16 v20, v25, v7, v4 op_sel:[1,0,0] neg_lo:[1,0,0] neg_hi:[1,0,0]
	v_pk_fma_f16 v4, v25, v7, v4 op_sel:[1,0,0] neg_lo:[0,0,1] neg_hi:[0,0,1]
	v_pk_add_f16 v7, v10, v19 op_sel:[0,1] op_sel_hi:[1,0]
	v_pk_add_f16 v10, v10, v19 op_sel:[0,1] op_sel_hi:[1,0] neg_lo:[0,1] neg_hi:[0,1]
	v_pk_add_f16 v20, v20, v19 op_sel:[0,1] op_sel_hi:[1,0] neg_lo:[0,1] neg_hi:[0,1]
	;; [unrolled: 1-line block ×3, first 2 shown]
	v_bfi_b32 v7, 0xffff, v7, v10
	v_lshl_add_u32 v10, v15, 2, v0
	v_bfi_b32 v4, 0xffff, v20, v4
	ds_write_b32 v17, v7
	ds_write_b32 v21, v4 offset:4704
	ds_read_b32 v4, v10
	ds_read_b32 v7, v21 offset:4312
	s_waitcnt lgkmcnt(0)
	v_pk_add_f16 v15, v4, v7 neg_lo:[0,1] neg_hi:[0,1]
	v_pk_add_f16 v4, v4, v7
	v_bfi_b32 v7, 0xffff, v15, v4
	v_bfi_b32 v4, 0xffff, v4, v15
	v_pk_mul_f16 v7, v7, 0.5 op_sel_hi:[1,0]
	v_pk_mul_f16 v4, v4, 0.5 op_sel_hi:[1,0]
	s_waitcnt vmcnt(3)
	v_pk_mul_f16 v17, v16, v7 op_sel_hi:[0,1]
	v_pk_fma_f16 v15, v16, v7, v4 op_sel:[1,0,0]
	v_pk_fma_f16 v19, v16, v7, v4 op_sel:[1,0,0] neg_lo:[1,0,0] neg_hi:[1,0,0]
	v_pk_fma_f16 v4, v16, v7, v4 op_sel:[1,0,0] neg_lo:[0,0,1] neg_hi:[0,0,1]
	v_pk_add_f16 v7, v15, v17 op_sel:[0,1] op_sel_hi:[1,0]
	v_pk_add_f16 v15, v15, v17 op_sel:[0,1] op_sel_hi:[1,0] neg_lo:[0,1] neg_hi:[0,1]
	v_pk_add_f16 v16, v19, v17 op_sel:[0,1] op_sel_hi:[1,0] neg_lo:[0,1] neg_hi:[0,1]
	;; [unrolled: 1-line block ×3, first 2 shown]
	v_bfi_b32 v7, 0xffff, v7, v15
	v_bfi_b32 v4, 0xffff, v16, v4
	ds_write_b32 v10, v7
	ds_write_b32 v21, v4 offset:4312
	ds_read_b32 v4, v13
	ds_read_b32 v7, v21 offset:3920
	s_waitcnt lgkmcnt(0)
	v_pk_add_f16 v10, v4, v7 neg_lo:[0,1] neg_hi:[0,1]
	v_pk_add_f16 v4, v4, v7
	v_bfi_b32 v7, 0xffff, v10, v4
	v_bfi_b32 v4, 0xffff, v4, v10
	v_pk_mul_f16 v7, v7, 0.5 op_sel_hi:[1,0]
	v_pk_mul_f16 v4, v4, 0.5 op_sel_hi:[1,0]
	s_waitcnt vmcnt(2)
	v_pk_mul_f16 v15, v14, v7 op_sel_hi:[0,1]
	v_pk_fma_f16 v10, v14, v7, v4 op_sel:[1,0,0]
	v_pk_fma_f16 v16, v14, v7, v4 op_sel:[1,0,0] neg_lo:[1,0,0] neg_hi:[1,0,0]
	v_pk_fma_f16 v4, v14, v7, v4 op_sel:[1,0,0] neg_lo:[0,0,1] neg_hi:[0,0,1]
	v_pk_add_f16 v7, v10, v15 op_sel:[0,1] op_sel_hi:[1,0]
	v_pk_add_f16 v10, v10, v15 op_sel:[0,1] op_sel_hi:[1,0] neg_lo:[0,1] neg_hi:[0,1]
	v_pk_add_f16 v14, v16, v15 op_sel:[0,1] op_sel_hi:[1,0] neg_lo:[0,1] neg_hi:[0,1]
	;; [unrolled: 1-line block ×3, first 2 shown]
	v_bfi_b32 v7, 0xffff, v7, v10
	v_lshl_add_u32 v10, v11, 2, v0
	v_bfi_b32 v4, 0xffff, v14, v4
	ds_write_b32 v13, v7
	ds_write_b32 v21, v4 offset:3920
	ds_read_b32 v4, v10
	ds_read_b32 v7, v21 offset:3528
	s_waitcnt lgkmcnt(0)
	v_pk_add_f16 v11, v4, v7 neg_lo:[0,1] neg_hi:[0,1]
	v_pk_add_f16 v4, v4, v7
	v_bfi_b32 v7, 0xffff, v11, v4
	v_bfi_b32 v4, 0xffff, v4, v11
	v_pk_mul_f16 v7, v7, 0.5 op_sel_hi:[1,0]
	v_pk_mul_f16 v4, v4, 0.5 op_sel_hi:[1,0]
	s_waitcnt vmcnt(1)
	v_pk_mul_f16 v13, v12, v7 op_sel_hi:[0,1]
	v_pk_fma_f16 v11, v12, v7, v4 op_sel:[1,0,0]
	v_pk_fma_f16 v14, v12, v7, v4 op_sel:[1,0,0] neg_lo:[1,0,0] neg_hi:[1,0,0]
	v_pk_fma_f16 v4, v12, v7, v4 op_sel:[1,0,0] neg_lo:[0,0,1] neg_hi:[0,0,1]
	v_pk_add_f16 v7, v11, v13 op_sel:[0,1] op_sel_hi:[1,0]
	v_pk_add_f16 v11, v11, v13 op_sel:[0,1] op_sel_hi:[1,0] neg_lo:[0,1] neg_hi:[0,1]
	v_pk_add_f16 v12, v14, v13 op_sel:[0,1] op_sel_hi:[1,0] neg_lo:[0,1] neg_hi:[0,1]
	;; [unrolled: 1-line block ×3, first 2 shown]
	v_bfi_b32 v7, 0xffff, v7, v11
	v_bfi_b32 v4, 0xffff, v12, v4
	ds_write_b32 v10, v7
	ds_write_b32 v21, v4 offset:3528
	ds_read_b32 v4, v9
	ds_read_b32 v7, v21 offset:3136
	s_waitcnt lgkmcnt(0)
	v_pk_add_f16 v10, v4, v7 neg_lo:[0,1] neg_hi:[0,1]
	v_pk_add_f16 v4, v4, v7
	v_bfi_b32 v7, 0xffff, v10, v4
	v_bfi_b32 v4, 0xffff, v4, v10
	v_pk_mul_f16 v7, v7, 0.5 op_sel_hi:[1,0]
	v_pk_mul_f16 v4, v4, 0.5 op_sel_hi:[1,0]
	s_waitcnt vmcnt(0)
	v_pk_mul_f16 v11, v18, v7 op_sel_hi:[0,1]
	v_pk_fma_f16 v10, v18, v7, v4 op_sel:[1,0,0]
	v_pk_fma_f16 v12, v18, v7, v4 op_sel:[1,0,0] neg_lo:[1,0,0] neg_hi:[1,0,0]
	v_pk_fma_f16 v4, v18, v7, v4 op_sel:[1,0,0] neg_lo:[0,0,1] neg_hi:[0,0,1]
	v_pk_add_f16 v7, v10, v11 op_sel:[0,1] op_sel_hi:[1,0]
	v_pk_add_f16 v10, v10, v11 op_sel:[0,1] op_sel_hi:[1,0] neg_lo:[0,1] neg_hi:[0,1]
	v_pk_add_f16 v12, v12, v11 op_sel:[0,1] op_sel_hi:[1,0] neg_lo:[0,1] neg_hi:[0,1]
	;; [unrolled: 1-line block ×3, first 2 shown]
	v_bfi_b32 v7, 0xffff, v7, v10
	v_bfi_b32 v4, 0xffff, v12, v4
	ds_write_b32 v9, v7
	ds_write_b32 v21, v4 offset:3136
	s_waitcnt lgkmcnt(0)
	s_barrier
	buffer_gl0_inv
	s_and_saveexec_b32 s0, vcc_lo
	s_cbranch_execz .LBB0_20
; %bb.18:
	v_mul_lo_u32 v7, s3, v5
	v_mul_lo_u32 v9, s2, v6
	v_mad_u64_u32 v[5:6], null, s2, v5, 0
	v_lshl_add_u32 v0, v3, 2, v0
	v_mov_b32_e32 v4, v8
	v_lshlrev_b64 v[1:2], 2, v[1:2]
	v_add_nc_u32_e32 v15, 0x200, v0
	v_add3_u32 v6, v6, v9, v7
	ds_read2_b32 v[9:10], v0 offset1:98
	v_add_nc_u32_e32 v7, 0x62, v3
	v_lshlrev_b64 v[11:12], 2, v[3:4]
	ds_read2_b32 v[15:16], v15 offset0:68 offset1:166
	v_lshlrev_b64 v[5:6], 2, v[5:6]
	v_lshlrev_b64 v[13:14], 2, v[7:8]
	v_add_nc_u32_e32 v7, 0xc4, v3
	v_add_co_u32 v17, vcc_lo, s10, v5
	v_add_co_ci_u32_e32 v6, vcc_lo, s11, v6, vcc_lo
	v_lshlrev_b64 v[4:5], 2, v[7:8]
	v_add_co_u32 v1, vcc_lo, v17, v1
	v_add_co_ci_u32_e32 v2, vcc_lo, v6, v2, vcc_lo
	v_add_nc_u32_e32 v7, 0x126, v3
	v_add_co_u32 v11, vcc_lo, v1, v11
	v_add_co_ci_u32_e32 v12, vcc_lo, v2, v12, vcc_lo
	v_add_co_u32 v13, vcc_lo, v1, v13
	v_add_co_ci_u32_e32 v14, vcc_lo, v2, v14, vcc_lo
	s_waitcnt lgkmcnt(1)
	global_store_dword v[11:12], v9, off
	v_lshlrev_b64 v[11:12], 2, v[7:8]
	v_add_co_u32 v4, vcc_lo, v1, v4
	v_add_co_ci_u32_e32 v5, vcc_lo, v2, v5, vcc_lo
	v_add_nc_u32_e32 v7, 0x188, v3
	v_add_co_u32 v11, vcc_lo, v1, v11
	v_add_nc_u32_e32 v6, 0x400, v0
	v_add_co_ci_u32_e32 v12, vcc_lo, v2, v12, vcc_lo
	v_lshlrev_b64 v[17:18], 2, v[7:8]
	v_add_nc_u32_e32 v7, 0x1ea, v3
	global_store_dword v[13:14], v10, off
	s_waitcnt lgkmcnt(0)
	global_store_dword v[4:5], v15, off
	global_store_dword v[11:12], v16, off
	ds_read2_b32 v[4:5], v6 offset0:136 offset1:234
	v_add_nc_u32_e32 v6, 0x800, v0
	v_lshlrev_b64 v[9:10], 2, v[7:8]
	v_add_nc_u32_e32 v7, 0x24c, v3
	v_add_co_u32 v11, vcc_lo, v1, v17
	ds_read2_b32 v[13:14], v6 offset0:76 offset1:174
	v_add_nc_u32_e32 v6, 0xc00, v0
	v_lshlrev_b64 v[15:16], 2, v[7:8]
	v_add_nc_u32_e32 v7, 0x2ae, v3
	v_add_co_ci_u32_e32 v12, vcc_lo, v2, v18, vcc_lo
	v_add_co_u32 v9, vcc_lo, v1, v9
	v_lshlrev_b64 v[17:18], 2, v[7:8]
	v_add_nc_u32_e32 v7, 0x310, v3
	ds_read2_b32 v[19:20], v6 offset0:16 offset1:114
	v_add_co_ci_u32_e32 v10, vcc_lo, v2, v10, vcc_lo
	v_add_co_u32 v15, vcc_lo, v1, v15
	v_add_co_ci_u32_e32 v16, vcc_lo, v2, v16, vcc_lo
	v_lshlrev_b64 v[21:22], 2, v[7:8]
	v_add_nc_u32_e32 v7, 0x372, v3
	v_add_co_u32 v17, vcc_lo, v1, v17
	v_add_co_ci_u32_e32 v18, vcc_lo, v2, v18, vcc_lo
	s_waitcnt lgkmcnt(2)
	global_store_dword v[11:12], v4, off
	global_store_dword v[9:10], v5, off
	s_waitcnt lgkmcnt(1)
	global_store_dword v[15:16], v13, off
	global_store_dword v[17:18], v14, off
	v_lshlrev_b64 v[4:5], 2, v[7:8]
	v_add_nc_u32_e32 v7, 0x3d4, v3
	v_add_co_u32 v9, vcc_lo, v1, v21
	v_add_co_ci_u32_e32 v10, vcc_lo, v2, v22, vcc_lo
	v_lshlrev_b64 v[11:12], 2, v[7:8]
	v_add_nc_u32_e32 v7, 0x436, v3
	v_add_co_u32 v4, vcc_lo, v1, v4
	v_add_co_ci_u32_e32 v5, vcc_lo, v2, v5, vcc_lo
	v_add_nc_u32_e32 v6, 0xe00, v0
	s_waitcnt lgkmcnt(0)
	global_store_dword v[9:10], v19, off
	v_lshlrev_b64 v[9:10], 2, v[7:8]
	v_add_nc_u32_e32 v7, 0x498, v3
	v_add_nc_u32_e32 v13, 0x1000, v0
	global_store_dword v[4:5], v20, off
	ds_read2_b32 v[4:5], v6 offset0:84 offset1:182
	v_add_co_u32 v11, vcc_lo, v1, v11
	v_lshlrev_b64 v[15:16], 2, v[7:8]
	v_add_nc_u32_e32 v7, 0x4fa, v3
	ds_read2_b32 v[13:14], v13 offset0:152 offset1:250
	v_add_co_ci_u32_e32 v12, vcc_lo, v2, v12, vcc_lo
	v_add_co_u32 v9, vcc_lo, v1, v9
	v_lshlrev_b64 v[6:7], 2, v[7:8]
	v_add_co_ci_u32_e32 v10, vcc_lo, v2, v10, vcc_lo
	v_add_co_u32 v15, vcc_lo, v1, v15
	v_add_co_ci_u32_e32 v16, vcc_lo, v2, v16, vcc_lo
	v_add_co_u32 v6, vcc_lo, v1, v6
	v_add_co_ci_u32_e32 v7, vcc_lo, v2, v7, vcc_lo
	v_cmp_eq_u32_e32 vcc_lo, 0x61, v3
	s_waitcnt lgkmcnt(1)
	global_store_dword v[11:12], v4, off
	global_store_dword v[9:10], v5, off
	s_waitcnt lgkmcnt(0)
	global_store_dword v[15:16], v13, off
	global_store_dword v[6:7], v14, off
	s_and_b32 exec_lo, exec_lo, vcc_lo
	s_cbranch_execz .LBB0_20
; %bb.19:
	ds_read_b32 v3, v0 offset:5100
	v_add_co_u32 v0, vcc_lo, 0x1000, v1
	v_add_co_ci_u32_e32 v1, vcc_lo, 0, v2, vcc_lo
	s_waitcnt lgkmcnt(0)
	global_store_dword v[0:1], v3, off offset:1392
.LBB0_20:
	s_endpgm
	.section	.rodata,"a",@progbits
	.p2align	6, 0x0
	.amdhsa_kernel fft_rtc_back_len1372_factors_2_2_7_7_7_wgs_196_tpt_98_halfLds_half_op_CI_CI_unitstride_sbrr_R2C_dirReg
		.amdhsa_group_segment_fixed_size 0
		.amdhsa_private_segment_fixed_size 0
		.amdhsa_kernarg_size 104
		.amdhsa_user_sgpr_count 6
		.amdhsa_user_sgpr_private_segment_buffer 1
		.amdhsa_user_sgpr_dispatch_ptr 0
		.amdhsa_user_sgpr_queue_ptr 0
		.amdhsa_user_sgpr_kernarg_segment_ptr 1
		.amdhsa_user_sgpr_dispatch_id 0
		.amdhsa_user_sgpr_flat_scratch_init 0
		.amdhsa_user_sgpr_private_segment_size 0
		.amdhsa_wavefront_size32 1
		.amdhsa_uses_dynamic_stack 0
		.amdhsa_system_sgpr_private_segment_wavefront_offset 0
		.amdhsa_system_sgpr_workgroup_id_x 1
		.amdhsa_system_sgpr_workgroup_id_y 0
		.amdhsa_system_sgpr_workgroup_id_z 0
		.amdhsa_system_sgpr_workgroup_info 0
		.amdhsa_system_vgpr_workitem_id 0
		.amdhsa_next_free_vgpr 62
		.amdhsa_next_free_sgpr 27
		.amdhsa_reserve_vcc 1
		.amdhsa_reserve_flat_scratch 0
		.amdhsa_float_round_mode_32 0
		.amdhsa_float_round_mode_16_64 0
		.amdhsa_float_denorm_mode_32 3
		.amdhsa_float_denorm_mode_16_64 3
		.amdhsa_dx10_clamp 1
		.amdhsa_ieee_mode 1
		.amdhsa_fp16_overflow 0
		.amdhsa_workgroup_processor_mode 1
		.amdhsa_memory_ordered 1
		.amdhsa_forward_progress 0
		.amdhsa_shared_vgpr_count 0
		.amdhsa_exception_fp_ieee_invalid_op 0
		.amdhsa_exception_fp_denorm_src 0
		.amdhsa_exception_fp_ieee_div_zero 0
		.amdhsa_exception_fp_ieee_overflow 0
		.amdhsa_exception_fp_ieee_underflow 0
		.amdhsa_exception_fp_ieee_inexact 0
		.amdhsa_exception_int_div_zero 0
	.end_amdhsa_kernel
	.text
.Lfunc_end0:
	.size	fft_rtc_back_len1372_factors_2_2_7_7_7_wgs_196_tpt_98_halfLds_half_op_CI_CI_unitstride_sbrr_R2C_dirReg, .Lfunc_end0-fft_rtc_back_len1372_factors_2_2_7_7_7_wgs_196_tpt_98_halfLds_half_op_CI_CI_unitstride_sbrr_R2C_dirReg
                                        ; -- End function
	.section	.AMDGPU.csdata,"",@progbits
; Kernel info:
; codeLenInByte = 10784
; NumSgprs: 29
; NumVgprs: 62
; ScratchSize: 0
; MemoryBound: 0
; FloatMode: 240
; IeeeMode: 1
; LDSByteSize: 0 bytes/workgroup (compile time only)
; SGPRBlocks: 3
; VGPRBlocks: 7
; NumSGPRsForWavesPerEU: 29
; NumVGPRsForWavesPerEU: 62
; Occupancy: 16
; WaveLimiterHint : 1
; COMPUTE_PGM_RSRC2:SCRATCH_EN: 0
; COMPUTE_PGM_RSRC2:USER_SGPR: 6
; COMPUTE_PGM_RSRC2:TRAP_HANDLER: 0
; COMPUTE_PGM_RSRC2:TGID_X_EN: 1
; COMPUTE_PGM_RSRC2:TGID_Y_EN: 0
; COMPUTE_PGM_RSRC2:TGID_Z_EN: 0
; COMPUTE_PGM_RSRC2:TIDIG_COMP_CNT: 0
	.text
	.p2alignl 6, 3214868480
	.fill 48, 4, 3214868480
	.type	__hip_cuid_f4811d3398a44c53,@object ; @__hip_cuid_f4811d3398a44c53
	.section	.bss,"aw",@nobits
	.globl	__hip_cuid_f4811d3398a44c53
__hip_cuid_f4811d3398a44c53:
	.byte	0                               ; 0x0
	.size	__hip_cuid_f4811d3398a44c53, 1

	.ident	"AMD clang version 19.0.0git (https://github.com/RadeonOpenCompute/llvm-project roc-6.4.0 25133 c7fe45cf4b819c5991fe208aaa96edf142730f1d)"
	.section	".note.GNU-stack","",@progbits
	.addrsig
	.addrsig_sym __hip_cuid_f4811d3398a44c53
	.amdgpu_metadata
---
amdhsa.kernels:
  - .args:
      - .actual_access:  read_only
        .address_space:  global
        .offset:         0
        .size:           8
        .value_kind:     global_buffer
      - .offset:         8
        .size:           8
        .value_kind:     by_value
      - .actual_access:  read_only
        .address_space:  global
        .offset:         16
        .size:           8
        .value_kind:     global_buffer
      - .actual_access:  read_only
        .address_space:  global
        .offset:         24
        .size:           8
        .value_kind:     global_buffer
      - .actual_access:  read_only
        .address_space:  global
        .offset:         32
        .size:           8
        .value_kind:     global_buffer
      - .offset:         40
        .size:           8
        .value_kind:     by_value
      - .actual_access:  read_only
        .address_space:  global
        .offset:         48
        .size:           8
        .value_kind:     global_buffer
      - .actual_access:  read_only
        .address_space:  global
        .offset:         56
        .size:           8
        .value_kind:     global_buffer
      - .offset:         64
        .size:           4
        .value_kind:     by_value
      - .actual_access:  read_only
        .address_space:  global
        .offset:         72
        .size:           8
        .value_kind:     global_buffer
      - .actual_access:  read_only
        .address_space:  global
        .offset:         80
        .size:           8
        .value_kind:     global_buffer
      - .actual_access:  read_only
        .address_space:  global
        .offset:         88
        .size:           8
        .value_kind:     global_buffer
      - .actual_access:  write_only
        .address_space:  global
        .offset:         96
        .size:           8
        .value_kind:     global_buffer
    .group_segment_fixed_size: 0
    .kernarg_segment_align: 8
    .kernarg_segment_size: 104
    .language:       OpenCL C
    .language_version:
      - 2
      - 0
    .max_flat_workgroup_size: 196
    .name:           fft_rtc_back_len1372_factors_2_2_7_7_7_wgs_196_tpt_98_halfLds_half_op_CI_CI_unitstride_sbrr_R2C_dirReg
    .private_segment_fixed_size: 0
    .sgpr_count:     29
    .sgpr_spill_count: 0
    .symbol:         fft_rtc_back_len1372_factors_2_2_7_7_7_wgs_196_tpt_98_halfLds_half_op_CI_CI_unitstride_sbrr_R2C_dirReg.kd
    .uniform_work_group_size: 1
    .uses_dynamic_stack: false
    .vgpr_count:     62
    .vgpr_spill_count: 0
    .wavefront_size: 32
    .workgroup_processor_mode: 1
amdhsa.target:   amdgcn-amd-amdhsa--gfx1030
amdhsa.version:
  - 1
  - 2
...

	.end_amdgpu_metadata
